;; amdgpu-corpus repo=ROCm/rocFFT kind=compiled arch=gfx950 opt=O3
	.text
	.amdgcn_target "amdgcn-amd-amdhsa--gfx950"
	.amdhsa_code_object_version 6
	.protected	fft_rtc_back_len1768_factors_17_13_8_wgs_136_tpt_136_halfLds_sp_op_CI_CI_unitstride_sbrr_dirReg ; -- Begin function fft_rtc_back_len1768_factors_17_13_8_wgs_136_tpt_136_halfLds_sp_op_CI_CI_unitstride_sbrr_dirReg
	.globl	fft_rtc_back_len1768_factors_17_13_8_wgs_136_tpt_136_halfLds_sp_op_CI_CI_unitstride_sbrr_dirReg
	.p2align	8
	.type	fft_rtc_back_len1768_factors_17_13_8_wgs_136_tpt_136_halfLds_sp_op_CI_CI_unitstride_sbrr_dirReg,@function
fft_rtc_back_len1768_factors_17_13_8_wgs_136_tpt_136_halfLds_sp_op_CI_CI_unitstride_sbrr_dirReg: ; @fft_rtc_back_len1768_factors_17_13_8_wgs_136_tpt_136_halfLds_sp_op_CI_CI_unitstride_sbrr_dirReg
; %bb.0:
	s_load_dwordx4 s[8:11], s[0:1], 0x58
	s_load_dwordx4 s[4:7], s[0:1], 0x0
	;; [unrolled: 1-line block ×3, first 2 shown]
	v_mul_u32_u24_e32 v1, 0x1e2, v0
	v_add_u32_sdwa v6, s2, v1 dst_sel:DWORD dst_unused:UNUSED_PAD src0_sel:DWORD src1_sel:WORD_1
	v_mov_b32_e32 v2, 0
	s_waitcnt lgkmcnt(0)
	v_cmp_lt_u64_e64 s[2:3], s[6:7], 2
	v_mov_b32_e32 v7, v2
	s_and_b64 vcc, exec, s[2:3]
	v_mov_b64_e32 v[10:11], 0
	s_cbranch_vccnz .LBB0_8
; %bb.1:
	s_load_dwordx2 s[2:3], s[0:1], 0x10
	s_add_u32 s16, s14, 8
	s_addc_u32 s17, s15, 0
	s_add_u32 s18, s12, 8
	s_addc_u32 s19, s13, 0
	s_waitcnt lgkmcnt(0)
	s_add_u32 s20, s2, 8
	v_mov_b64_e32 v[10:11], 0
	s_addc_u32 s21, s3, 0
	s_mov_b64 s[22:23], 1
	v_mov_b64_e32 v[4:5], v[10:11]
.LBB0_2:                                ; =>This Inner Loop Header: Depth=1
	s_load_dwordx2 s[24:25], s[20:21], 0x0
                                        ; implicit-def: $vgpr8_vgpr9
	s_waitcnt lgkmcnt(0)
	v_or_b32_e32 v3, s25, v7
	v_cmp_ne_u64_e32 vcc, 0, v[2:3]
	s_and_saveexec_b64 s[2:3], vcc
	s_xor_b64 s[26:27], exec, s[2:3]
	s_cbranch_execz .LBB0_4
; %bb.3:                                ;   in Loop: Header=BB0_2 Depth=1
	v_cvt_f32_u32_e32 v1, s24
	v_cvt_f32_u32_e32 v3, s25
	s_sub_u32 s2, 0, s24
	s_subb_u32 s3, 0, s25
	v_fmac_f32_e32 v1, 0x4f800000, v3
	v_rcp_f32_e32 v1, v1
	s_nop 0
	v_mul_f32_e32 v1, 0x5f7ffffc, v1
	v_mul_f32_e32 v3, 0x2f800000, v1
	v_trunc_f32_e32 v3, v3
	v_fmac_f32_e32 v1, 0xcf800000, v3
	v_cvt_u32_f32_e32 v3, v3
	v_cvt_u32_f32_e32 v1, v1
	v_mul_lo_u32 v8, s2, v3
	v_mul_hi_u32 v12, s2, v1
	v_mul_lo_u32 v9, s3, v1
	v_add_u32_e32 v12, v12, v8
	v_mul_lo_u32 v14, s2, v1
	v_add_u32_e32 v15, v12, v9
	v_mul_hi_u32 v8, v1, v14
	v_mul_hi_u32 v13, v1, v15
	v_mul_lo_u32 v12, v1, v15
	v_mov_b32_e32 v9, v2
	v_lshl_add_u64 v[8:9], v[8:9], 0, v[12:13]
	v_mul_hi_u32 v13, v3, v14
	v_mul_lo_u32 v14, v3, v14
	v_add_co_u32_e32 v8, vcc, v8, v14
	v_mul_hi_u32 v12, v3, v15
	s_nop 0
	v_addc_co_u32_e32 v8, vcc, v9, v13, vcc
	v_mov_b32_e32 v9, v2
	s_nop 0
	v_addc_co_u32_e32 v13, vcc, 0, v12, vcc
	v_mul_lo_u32 v12, v3, v15
	v_lshl_add_u64 v[8:9], v[8:9], 0, v[12:13]
	v_add_co_u32_e32 v1, vcc, v1, v8
	v_mul_lo_u32 v12, s2, v1
	s_nop 0
	v_addc_co_u32_e32 v3, vcc, v3, v9, vcc
	v_mul_lo_u32 v8, s2, v3
	v_mul_hi_u32 v9, s2, v1
	v_add_u32_e32 v8, v9, v8
	v_mul_lo_u32 v9, s3, v1
	v_add_u32_e32 v14, v8, v9
	v_mul_hi_u32 v16, v3, v12
	v_mul_lo_u32 v17, v3, v12
	v_mul_hi_u32 v9, v1, v14
	v_mul_lo_u32 v8, v1, v14
	v_mul_hi_u32 v12, v1, v12
	v_mov_b32_e32 v13, v2
	v_lshl_add_u64 v[8:9], v[12:13], 0, v[8:9]
	v_add_co_u32_e32 v8, vcc, v8, v17
	v_mul_hi_u32 v15, v3, v14
	s_nop 0
	v_addc_co_u32_e32 v8, vcc, v9, v16, vcc
	v_mul_lo_u32 v12, v3, v14
	s_nop 0
	v_addc_co_u32_e32 v13, vcc, 0, v15, vcc
	v_mov_b32_e32 v9, v2
	v_lshl_add_u64 v[8:9], v[8:9], 0, v[12:13]
	v_add_co_u32_e32 v1, vcc, v1, v8
	v_mul_hi_u32 v12, v6, v1
	s_nop 0
	v_addc_co_u32_e32 v3, vcc, v3, v9, vcc
	v_mad_u64_u32 v[8:9], s[2:3], v6, v3, 0
	v_mov_b32_e32 v13, v2
	v_lshl_add_u64 v[8:9], v[12:13], 0, v[8:9]
	v_mad_u64_u32 v[14:15], s[2:3], v7, v1, 0
	v_add_co_u32_e32 v1, vcc, v8, v14
	v_mad_u64_u32 v[12:13], s[2:3], v7, v3, 0
	s_nop 0
	v_addc_co_u32_e32 v8, vcc, v9, v15, vcc
	v_mov_b32_e32 v9, v2
	s_nop 0
	v_addc_co_u32_e32 v13, vcc, 0, v13, vcc
	v_lshl_add_u64 v[8:9], v[8:9], 0, v[12:13]
	v_mul_lo_u32 v1, s25, v8
	v_mul_lo_u32 v3, s24, v9
	v_mad_u64_u32 v[12:13], s[2:3], s24, v8, 0
	v_add3_u32 v1, v13, v3, v1
	v_sub_u32_e32 v3, v7, v1
	v_mov_b32_e32 v13, s25
	v_sub_co_u32_e32 v16, vcc, v6, v12
	v_lshl_add_u64 v[14:15], v[8:9], 0, 1
	s_nop 0
	v_subb_co_u32_e64 v3, s[2:3], v3, v13, vcc
	v_subrev_co_u32_e64 v12, s[2:3], s24, v16
	v_subb_co_u32_e32 v1, vcc, v7, v1, vcc
	s_nop 0
	v_subbrev_co_u32_e64 v3, s[2:3], 0, v3, s[2:3]
	v_cmp_le_u32_e64 s[2:3], s25, v3
	v_cmp_le_u32_e32 vcc, s25, v1
	s_nop 0
	v_cndmask_b32_e64 v13, 0, -1, s[2:3]
	v_cmp_le_u32_e64 s[2:3], s24, v12
	s_nop 1
	v_cndmask_b32_e64 v12, 0, -1, s[2:3]
	v_cmp_eq_u32_e64 s[2:3], s25, v3
	s_nop 1
	v_cndmask_b32_e64 v3, v13, v12, s[2:3]
	v_lshl_add_u64 v[12:13], v[8:9], 0, 2
	v_cmp_ne_u32_e64 s[2:3], 0, v3
	s_nop 1
	v_cndmask_b32_e64 v3, v15, v13, s[2:3]
	v_cndmask_b32_e64 v13, 0, -1, vcc
	v_cmp_le_u32_e32 vcc, s24, v16
	s_nop 1
	v_cndmask_b32_e64 v15, 0, -1, vcc
	v_cmp_eq_u32_e32 vcc, s25, v1
	s_nop 1
	v_cndmask_b32_e32 v1, v13, v15, vcc
	v_cmp_ne_u32_e32 vcc, 0, v1
	v_cndmask_b32_e64 v1, v14, v12, s[2:3]
	s_nop 0
	v_cndmask_b32_e32 v9, v9, v3, vcc
	v_cndmask_b32_e32 v8, v8, v1, vcc
.LBB0_4:                                ;   in Loop: Header=BB0_2 Depth=1
	s_andn2_saveexec_b64 s[2:3], s[26:27]
	s_cbranch_execz .LBB0_6
; %bb.5:                                ;   in Loop: Header=BB0_2 Depth=1
	v_cvt_f32_u32_e32 v1, s24
	s_sub_i32 s26, 0, s24
	v_rcp_iflag_f32_e32 v1, v1
	s_nop 0
	v_mul_f32_e32 v1, 0x4f7ffffe, v1
	v_cvt_u32_f32_e32 v1, v1
	v_mul_lo_u32 v3, s26, v1
	v_mul_hi_u32 v3, v1, v3
	v_add_u32_e32 v1, v1, v3
	v_mul_hi_u32 v1, v6, v1
	v_mul_lo_u32 v3, v1, s24
	v_sub_u32_e32 v3, v6, v3
	v_add_u32_e32 v8, 1, v1
	v_subrev_u32_e32 v9, s24, v3
	v_cmp_le_u32_e32 vcc, s24, v3
	s_nop 1
	v_cndmask_b32_e32 v3, v3, v9, vcc
	v_cndmask_b32_e32 v1, v1, v8, vcc
	v_add_u32_e32 v8, 1, v1
	v_cmp_le_u32_e32 vcc, s24, v3
	v_mov_b32_e32 v9, v2
	s_nop 0
	v_cndmask_b32_e32 v8, v1, v8, vcc
.LBB0_6:                                ;   in Loop: Header=BB0_2 Depth=1
	s_or_b64 exec, exec, s[2:3]
	v_mad_u64_u32 v[12:13], s[2:3], v8, s24, 0
	s_load_dwordx2 s[2:3], s[18:19], 0x0
	v_mul_lo_u32 v1, v9, s24
	v_mul_lo_u32 v3, v8, s25
	s_load_dwordx2 s[24:25], s[16:17], 0x0
	s_add_u32 s22, s22, 1
	v_add3_u32 v1, v13, v3, v1
	v_sub_co_u32_e32 v3, vcc, v6, v12
	s_addc_u32 s23, s23, 0
	s_nop 0
	v_subb_co_u32_e32 v1, vcc, v7, v1, vcc
	s_add_u32 s16, s16, 8
	s_waitcnt lgkmcnt(0)
	v_mul_lo_u32 v6, s2, v1
	v_mul_lo_u32 v7, s3, v3
	v_mad_u64_u32 v[10:11], s[2:3], s2, v3, v[10:11]
	s_addc_u32 s17, s17, 0
	v_add3_u32 v11, v7, v11, v6
	v_mul_lo_u32 v1, s24, v1
	v_mul_lo_u32 v6, s25, v3
	v_mad_u64_u32 v[4:5], s[2:3], s24, v3, v[4:5]
	s_add_u32 s18, s18, 8
	v_add3_u32 v5, v6, v5, v1
	s_addc_u32 s19, s19, 0
	v_mov_b64_e32 v[6:7], s[6:7]
	s_add_u32 s20, s20, 8
	v_cmp_ge_u64_e32 vcc, s[22:23], v[6:7]
	s_addc_u32 s21, s21, 0
	s_cbranch_vccnz .LBB0_9
; %bb.7:                                ;   in Loop: Header=BB0_2 Depth=1
	v_mov_b64_e32 v[6:7], v[8:9]
	s_branch .LBB0_2
.LBB0_8:
	v_mov_b64_e32 v[4:5], v[10:11]
	v_mov_b64_e32 v[8:9], v[6:7]
.LBB0_9:
	s_load_dwordx2 s[0:1], s[0:1], 0x28
	s_mov_b32 s16, 0x1e1e1e2
	v_mul_hi_u32 v1, v0, s16
	v_mul_u32_u24_e32 v1, 0x88, v1
	s_lshl_b64 s[2:3], s[6:7], 3
	s_waitcnt lgkmcnt(0)
	v_cmp_gt_u64_e32 vcc, s[0:1], v[8:9]
	v_sub_u32_e32 v6, v0, v1
	s_movk_i32 s0, 0x68
	s_add_u32 s6, s14, s2
	v_cmp_gt_u32_e64 s[0:1], s0, v6
	s_addc_u32 s7, s15, s3
	s_and_b64 s[16:17], vcc, s[0:1]
	v_mov_b32_e32 v29, 0
	v_mov_b32_e32 v15, 0
                                        ; implicit-def: $vgpr16
                                        ; implicit-def: $vgpr32
                                        ; implicit-def: $vgpr20
                                        ; implicit-def: $vgpr34
                                        ; implicit-def: $vgpr18
                                        ; implicit-def: $vgpr38
                                        ; implicit-def: $vgpr26
                                        ; implicit-def: $vgpr40
                                        ; implicit-def: $vgpr24
                                        ; implicit-def: $vgpr42
                                        ; implicit-def: $vgpr22
                                        ; implicit-def: $vgpr44
                                        ; implicit-def: $vgpr2
                                        ; implicit-def: $vgpr36
                                        ; implicit-def: $vgpr0
	s_and_saveexec_b64 s[14:15], s[16:17]
	s_cbranch_execz .LBB0_11
; %bb.10:
	s_add_u32 s2, s12, s2
	s_addc_u32 s3, s13, s3
	s_load_dwordx2 s[2:3], s[2:3], 0x0
	v_mov_b32_e32 v7, 0
	s_waitcnt lgkmcnt(0)
	v_mul_lo_u32 v2, s3, v8
	v_mul_lo_u32 v3, s2, v9
	v_mad_u64_u32 v[0:1], s[2:3], s2, v8, 0
	v_add3_u32 v1, v1, v3, v2
	v_lshl_add_u64 v[0:1], v[0:1], 3, s[8:9]
	v_lshl_add_u64 v[0:1], v[10:11], 3, v[0:1]
	;; [unrolled: 1-line block ×3, first 2 shown]
	s_movk_i32 s2, 0x1000
	v_add_co_u32_e64 v12, s[2:3], s2, v2
	global_load_dwordx2 v[10:11], v[2:3], off
	global_load_dwordx2 v[36:37], v[2:3], off offset:832
	v_addc_co_u32_e64 v13, s[2:3], 0, v3, s[2:3]
	s_movk_i32 s2, 0x2000
	s_nop 0
	v_add_co_u32_e64 v28, s[2:3], s2, v2
	s_nop 1
	v_addc_co_u32_e64 v29, s[2:3], 0, v3, s[2:3]
	s_movk_i32 s2, 0x3000
	global_load_dwordx2 v[16:17], v[12:13], off offset:2560
	global_load_dwordx2 v[14:15], v[12:13], off offset:3392
	global_load_dwordx2 v[20:21], v[28:29], off offset:128
	global_load_dwordx2 v[18:19], v[28:29], off offset:960
	global_load_dwordx2 v[32:33], v[12:13], off offset:1728
	global_load_dwordx2 v[34:35], v[12:13], off offset:896
	global_load_dwordx2 v[38:39], v[12:13], off offset:64
	global_load_dwordx2 v[40:41], v[2:3], off offset:3328
	global_load_dwordx2 v[42:43], v[2:3], off offset:2496
	global_load_dwordx2 v[44:45], v[2:3], off offset:1664
	v_add_co_u32_e64 v12, s[2:3], s2, v2
	v_or_b32_e32 v2, 0x680, v6
	s_nop 0
	v_addc_co_u32_e64 v13, s[2:3], 0, v3, s[2:3]
	v_mov_b32_e32 v3, v7
	v_lshl_add_u64 v[30:31], v[2:3], 3, v[0:1]
	global_load_dwordx2 v[0:1], v[30:31], off
	global_load_dwordx2 v[26:27], v[28:29], off offset:1792
	global_load_dwordx2 v[24:25], v[28:29], off offset:2624
	;; [unrolled: 1-line block ×4, first 2 shown]
	s_waitcnt vmcnt(16)
	v_mov_b32_e32 v29, v11
	s_waitcnt vmcnt(13)
	v_mov_b32_e32 v28, v15
	v_mov_b32_e32 v15, v10
.LBB0_11:
	s_or_b64 exec, exec, s[14:15]
	s_mov_b32 s26, 0xbf7ee86f
	s_waitcnt vmcnt(4)
	v_pk_add_f32 v[30:31], v[36:37], v[0:1] neg_lo:[0,1] neg_hi:[0,1]
	s_mov_b32 s8, 0x3dbcf732
	s_mov_b32 s27, 0xbf65296c
	;; [unrolled: 1-line block ×3, first 2 shown]
	v_pk_add_f32 v[58:59], v[36:37], v[0:1]
	s_waitcnt vmcnt(0)
	v_pk_add_f32 v[54:55], v[44:45], v[2:3] neg_lo:[0,1] neg_hi:[0,1]
	s_mov_b32 s9, 0x3ee437d1
	s_mov_b32 s12, 0xbf7ba420
	;; [unrolled: 1-line block ×4, first 2 shown]
	v_pk_mul_f32 v[82:83], v[30:31], s[26:27] op_sel:[1,0]
	v_pk_add_f32 v[56:57], v[44:45], v[2:3]
	v_pk_add_f32 v[46:47], v[42:43], v[22:23] neg_lo:[0,1] neg_hi:[0,1]
	s_mov_b32 s13, 0xbf1a4643
	s_mov_b32 s31, 0x3e3c28d5
	v_pk_fma_f32 v[10:11], v[58:59], s[8:9], v[82:83] op_sel_hi:[0,1,1] neg_lo:[0,0,1] neg_hi:[0,0,1]
	v_mov_b32_e32 v12, v15
	v_pk_mul_f32 v[86:87], v[54:55], s[28:29] op_sel:[1,0]
	v_pk_add_f32 v[50:51], v[42:43], v[22:23]
	v_pk_add_f32 v[48:49], v[40:41], v[24:25] neg_lo:[0,1] neg_hi:[0,1]
	s_mov_b32 s14, 0xbe8c1d8e
	s_mov_b32 s34, 0x3eb8f4ab
	v_pk_add_f32 v[10:11], v[12:13], v[10:11] op_sel_hi:[0,1]
	v_pk_fma_f32 v[12:13], v[56:57], s[12:13], v[86:87] op_sel_hi:[0,1,1] neg_lo:[0,0,1] neg_hi:[0,0,1]
	s_mov_b32 s15, s12
	v_pk_mul_f32 v[78:79], v[46:47], s[30:31] op_sel:[1,0]
	s_mov_b32 s35, s30
	v_pk_add_f32 v[52:53], v[40:41], v[24:25]
	s_mov_b32 s16, 0x3f6eb680
	v_pk_add_f32 v[10:11], v[10:11], v[12:13]
	v_pk_fma_f32 v[12:13], v[50:51], s[14:15], v[78:79] op_sel_hi:[0,1,1] neg_lo:[0,0,1] neg_hi:[0,0,1]
	s_mov_b32 s17, s14
	v_pk_mul_f32 v[80:81], v[48:49], s[34:35] op_sel:[1,0]
	s_mov_b32 s37, 0x3f2c7751
	s_mov_b32 s36, s27
	v_pk_add_f32 v[68:69], v[38:39], v[26:27] neg_lo:[0,1] neg_hi:[0,1]
	s_mov_b32 s38, 0xbf06c442
	v_pk_add_f32 v[10:11], v[12:13], v[10:11]
	v_pk_fma_f32 v[12:13], v[52:53], s[16:17], v[80:81] op_sel_hi:[0,1,1] neg_lo:[0,0,1] neg_hi:[0,0,1]
	s_mov_b32 s19, 0x3f3d2fb0
	s_mov_b32 s18, s9
	v_pk_add_f32 v[72:73], v[38:39], v[26:27]
	v_pk_mul_f32 v[88:89], v[68:69], s[36:37] op_sel:[1,0]
	s_mov_b32 s39, 0xbeb8f4ab
	v_pk_add_f32 v[70:71], v[34:35], v[18:19] neg_lo:[0,1] neg_hi:[0,1]
	v_pk_add_f32 v[10:11], v[12:13], v[10:11]
	v_pk_fma_f32 v[12:13], v[72:73], s[18:19], v[88:89] op_sel_hi:[0,1,1] neg_lo:[0,0,1] neg_hi:[0,0,1]
	s_mov_b32 s20, 0xbf59a7d5
	s_mov_b32 s21, s16
	v_pk_add_f32 v[74:75], v[34:35], v[18:19]
	v_pk_mul_f32 v[90:91], v[70:71], s[38:39] op_sel:[1,0]
	s_mov_b32 s42, 0x3f4c4adb
	s_mov_b32 s43, s26
	v_pk_add_f32 v[60:61], v[32:33], v[20:21] neg_lo:[0,1] neg_hi:[0,1]
	v_pk_add_f32 v[10:11], v[12:13], v[10:11]
	v_pk_fma_f32 v[12:13], v[74:75], s[20:21], v[90:91] op_sel_hi:[0,1,1] neg_lo:[0,0,1] neg_hi:[0,0,1]
	s_mov_b32 s22, s13
	s_mov_b32 s23, s8
	v_pk_add_f32 v[62:63], v[32:33], v[20:21]
	v_pk_mul_f32 v[92:93], v[60:61], s[42:43] op_sel:[1,0]
	v_pk_add_f32 v[10:11], v[12:13], v[10:11]
	v_pk_fma_f32 v[12:13], v[62:63], s[22:23], v[92:93] op_sel_hi:[0,1,1] neg_lo:[0,0,1] neg_hi:[0,0,1]
	v_pk_add_f32 v[10:11], v[12:13], v[10:11]
	v_mov_b32_e32 v12, v14
	v_mov_b32_e32 v13, v28
	v_pk_add_f32 v[64:65], v[16:17], v[12:13] neg_lo:[0,1] neg_hi:[0,1]
	s_mov_b32 s44, s37
	s_mov_b32 s45, s38
	v_pk_add_f32 v[66:67], v[16:17], v[12:13]
	s_mov_b32 s24, s19
	s_mov_b32 s25, s20
	v_pk_mul_f32 v[76:77], v[64:65], s[44:45] op_sel:[1,0]
	v_mul_f32_e32 v112, 0xbf2c7751, v31
	v_pk_fma_f32 v[12:13], v[66:67], s[24:25], v[76:77] op_sel_hi:[0,1,1] neg_lo:[0,0,1] neg_hi:[0,0,1]
	v_fma_f32 v7, v58, s19, -v112
	v_mul_f32_e32 v110, 0xbf7ee86f, v55
	v_pk_add_f32 v[10:11], v[12:13], v[10:11]
	v_add_f32_e32 v7, v15, v7
	v_fma_f32 v12, v56, s8, -v110
	v_mul_f32_e32 v108, 0xbf4c4adb, v47
	v_add_f32_e32 v7, v7, v12
	v_fma_f32 v12, v50, s13, -v108
	v_mul_f32_e32 v106, 0xbe3c28d5, v49
	;; [unrolled: 3-line block ×6, first 2 shown]
	v_add_f32_e32 v7, v12, v7
	v_fma_f32 v12, v66, s16, -v96
	s_mov_b32 s40, 0xbf2c7751
	s_mov_b32 s2, 0x3f06c442
	;; [unrolled: 1-line block ×3, first 2 shown]
	v_add_f32_e32 v13, v12, v7
	s_and_saveexec_b64 s[48:49], s[0:1]
	s_cbranch_execz .LBB0_13
; %bb.12:
	v_mov_b32_e32 v54, v55
	s_mov_b32 s47, 0xbf763a35
	s_mov_b32 s50, s30
	;; [unrolled: 1-line block ×3, first 2 shown]
	v_pk_mul_f32 v[124:125], v[58:59], s[8:9] op_sel_hi:[0,1]
	v_mov_b32_e32 v59, v56
	s_mov_b32 s52, s14
	s_mov_b32 s53, s20
	v_pk_mul_f32 v[84:85], v[54:55], s[50:51]
	v_mov_b32_e32 v54, v31
	s_mov_b32 s50, s47
	s_mov_b32 s51, s2
	v_pk_mul_f32 v[102:103], v[58:59], s[52:53]
	v_mov_b32_e32 v12, v15
	v_pk_fma_f32 v[94:95], v[54:55], s[50:51], v[102:103]
	s_mov_b32 s52, s39
	v_pk_add_f32 v[114:115], v[12:13], v[94:95]
	v_mov_b32_e32 v46, v95
	v_pk_add_f32 v[114:115], v[114:115], v[46:47]
	v_mov_b32_e32 v46, v47
	s_mov_b32 s53, s26
	v_pk_mul_f32 v[130:131], v[52:53], s[16:17] op_sel_hi:[0,1]
	v_mov_b32_e32 v53, v50
	v_pk_fma_f32 v[102:103], v[54:55], s[50:51], v[102:103] neg_lo:[1,0,0] neg_hi:[1,0,0]
	v_pk_mul_f32 v[94:95], v[46:47], s[52:53]
	v_mov_b32_e32 v46, v49
	v_pk_mul_f32 v[116:117], v[52:53], s[18:19]
	v_add_f32_e32 v7, v15, v102
	v_pk_fma_f32 v[118:119], v[46:47], s[36:37], v[116:117]
	v_add_f32_e32 v7, v7, v103
	v_pk_fma_f32 v[102:103], v[46:47], s[36:37], v[116:117] neg_lo:[1,0,0] neg_hi:[1,0,0]
	v_mov_b32_e32 v48, v119
	v_add_f32_e32 v7, v103, v7
	v_mov_b32_e32 v68, v69
	s_mov_b32 s50, 0x3f7ee86f
	s_mov_b32 s51, s39
	v_pk_mul_f32 v[132:133], v[74:75], s[20:21] op_sel_hi:[0,1]
	v_mov_b32_e32 v75, v72
	s_mov_b32 s52, s8
	s_mov_b32 s53, s12
	v_pk_add_f32 v[114:115], v[48:49], v[114:115]
	v_add_f32_e32 v7, v102, v7
	v_pk_mul_f32 v[102:103], v[68:69], s[50:51]
	v_mov_b32_e32 v68, v71
	s_mov_b32 s51, s28
	v_pk_mul_f32 v[116:117], v[74:75], s[52:53]
	v_pk_add_f32 v[114:115], v[118:119], v[114:115]
	v_pk_fma_f32 v[118:119], v[68:69], s[50:51], v[116:117] neg_lo:[1,0,0] neg_hi:[1,0,0]
	v_pk_fma_f32 v[116:117], v[68:69], s[50:51], v[116:117]
	v_pk_mul_f32 v[136:137], v[56:57], s[12:13] op_sel_hi:[0,1]
	v_mov_b32_e32 v46, v117
	v_pk_add_f32 v[114:115], v[46:47], v[114:115]
	v_add_f32_e32 v7, v119, v7
	v_pk_add_f32 v[134:135], v[116:117], v[114:115]
	v_mov_b32_e32 v114, v82
	v_mov_b32_e32 v115, v86
	;; [unrolled: 1-line block ×4, first 2 shown]
	v_pk_add_f32 v[114:115], v[114:115], v[116:117]
	v_pk_mul_f32 v[138:139], v[50:51], s[14:15] op_sel_hi:[0,1]
	v_pk_add_f32 v[116:117], v[12:13], v[114:115]
	v_mov_b32_e32 v46, v115
	v_add_f32_e32 v53, v118, v7
	v_pk_add_f32 v[114:115], v[116:117], v[46:47]
	v_mov_b32_e32 v116, v80
	v_mov_b32_e32 v117, v78
	v_mov_b32_e32 v118, v130
	v_mov_b32_e32 v119, v138
	v_pk_add_f32 v[116:117], v[116:117], v[118:119]
	v_pk_mul_f32 v[140:141], v[72:73], s[18:19] op_sel_hi:[0,1]
	v_mov_b32_e32 v46, v117
	v_pk_add_f32 v[114:115], v[46:47], v[114:115]
	v_mov_b32_e32 v118, v132
	v_pk_add_f32 v[114:115], v[116:117], v[114:115]
	v_mov_b32_e32 v116, v90
	v_mov_b32_e32 v117, v88
	;; [unrolled: 1-line block ×3, first 2 shown]
	v_pk_add_f32 v[116:117], v[116:117], v[118:119]
	v_mov_b32_e32 v70, v71
	v_mov_b32_e32 v46, v117
	v_pk_add_f32 v[114:115], v[46:47], v[114:115]
	s_mov_b32 s41, s28
	v_pk_add_f32 v[142:143], v[116:117], v[114:115]
	v_mov_b32_e32 v118, v55
	v_mov_b32_e32 v119, v56
	v_pk_mul_f32 v[114:115], v[70:71], s[40:41]
	s_mov_b32 s41, s19
	v_pk_mul_f32 v[116:117], v[118:119], s[40:41]
	v_mov_b32_e32 v120, v47
	v_mov_b32_e32 v7, v116
	;; [unrolled: 1-line block ×3, first 2 shown]
	s_mov_b32 s50, s27
	s_mov_b32 s51, s9
	v_pk_fma_f32 v[144:145], v[118:119], s[40:41], v[6:7]
	v_pk_mul_f32 v[118:119], v[120:121], s[50:51]
	v_mov_b32_e32 v122, v49
	v_mov_b32_e32 v7, v118
	v_pk_fma_f32 v[146:147], v[120:121], s[50:51], v[6:7]
	v_mov_b32_e32 v123, v52
	s_mov_b32 s50, s26
	s_mov_b32 s51, s8
	v_pk_mul_f32 v[120:121], v[122:123], s[50:51]
	v_mov_b32_e32 v126, v69
	v_mov_b32_e32 v7, v120
	v_pk_fma_f32 v[148:149], v[122:123], s[50:51], v[6:7]
	v_mov_b32_e32 v127, v72
	s_mov_b32 s50, s47
	s_mov_b32 s51, s14
	v_mov_b32_e32 v113, v83
	v_mul_f32_e32 v124, 0x3f3d2fb0, v58
	v_mov_b32_e32 v111, v87
	v_mul_f32_e32 v136, 0x3dbcf732, v56
	v_pk_mul_f32 v[122:123], v[126:127], s[50:51]
	v_pk_add_f32 v[82:83], v[112:113], v[124:125]
	v_pk_add_f32 v[86:87], v[110:111], v[136:137]
	v_mov_b32_e32 v110, v15
	v_mov_b32_e32 v111, v15
	v_mov_b32_e32 v7, v122
	v_pk_add_f32 v[82:83], v[110:111], v[82:83]
	v_mov_b32_e32 v109, v79
	v_mul_f32_e32 v138, 0xbf1a4643, v50
	v_pk_fma_f32 v[150:151], v[126:127], s[50:51], v[6:7]
	v_mov_b32_e32 v128, v71
	v_mov_b32_e32 v129, v74
	s_mov_b32 s50, s29
	s_mov_b32 s51, s13
	v_pk_add_f32 v[82:83], v[82:83], v[86:87]
	v_pk_add_f32 v[78:79], v[108:109], v[138:139]
	v_mov_b32_e32 v107, v81
	v_mul_f32_e32 v130, 0xbf7ba420, v52
	v_pk_mul_f32 v[126:127], v[128:129], s[50:51]
	v_pk_add_f32 v[78:79], v[78:79], v[82:83]
	v_pk_add_f32 v[80:81], v[106:107], v[130:131]
	v_mov_b32_e32 v105, v89
	v_mul_f32_e32 v140, 0xbf59a7d5, v72
	v_mov_b32_e32 v7, v126
	v_pk_add_f32 v[78:79], v[80:81], v[78:79]
	v_pk_add_f32 v[80:81], v[104:105], v[140:141]
	v_mov_b32_e32 v101, v91
	v_mul_f32_e32 v132, 0xbe8c1d8e, v74
	v_pk_fma_f32 v[152:153], v[128:129], s[50:51], v[6:7]
	v_mov_b32_e32 v154, v61
	v_mov_b32_e32 v155, v62
	s_mov_b32 s50, s39
	s_mov_b32 s51, s16
	v_pk_add_f32 v[78:79], v[80:81], v[78:79]
	v_pk_add_f32 v[80:81], v[100:101], v[132:133]
	v_pk_mul_f32 v[156:157], v[154:155], s[50:51]
	v_pk_add_f32 v[78:79], v[80:81], v[78:79]
	v_pk_mul_f32 v[80:81], v[62:63], s[22:23] op_sel_hi:[0,1]
	v_mov_b32_e32 v7, v156
	v_mov_b32_e32 v99, v93
	v_pk_add_f32 v[82:83], v[92:93], v[80:81]
	v_mul_f32_e32 v80, 0x3ee437d1, v62
	v_pk_fma_f32 v[158:159], v[154:155], s[50:51], v[6:7]
	s_mov_b32 s50, s38
	s_mov_b32 s51, s20
	v_pk_add_f32 v[80:81], v[98:99], v[80:81]
	v_pk_mul_f32 v[86:87], v[66:67], s[24:25] op_sel_hi:[0,1]
	v_pk_mul_f32 v[128:129], v[154:155], s[50:51]
	v_pk_add_f32 v[78:79], v[80:81], v[78:79]
	v_mov_b32_e32 v97, v77
	v_mul_f32_e32 v80, 0x3f6eb680, v66
	v_mov_b32_e32 v81, v87
	v_mov_b32_e32 v7, v128
	s_movk_i32 s3, 0x44
	v_pk_add_f32 v[80:81], v[96:97], v[80:81]
	v_mul_f32_e32 v63, 0xbf4c4adb, v65
	v_pk_fma_f32 v[154:155], v[154:155], s[50:51], v[6:7]
	v_mov_b32_e32 v160, v65
	v_mov_b32_e32 v161, v66
	s_mov_b32 s50, s28
	s_mov_b32 s51, s12
	v_mad_u32_u24 v68, v6, s3, 0
	v_pk_add_f32 v[78:79], v[80:81], v[78:79]
	v_mul_f32_e32 v143, 0xbf1a4643, v66
	v_mov_b32_e32 v83, v63
	v_mov_b32_e32 v77, v159
	;; [unrolled: 1-line block ×3, first 2 shown]
	v_pk_mul_f32 v[162:163], v[160:161], s[50:51]
	ds_write2_b32 v68, v78, v79 offset0:2 offset1:3
	v_pk_add_f32 v[78:79], v[82:83], v[142:143]
	v_pk_add_f32 v[76:77], v[76:77], v[86:87]
	v_mov_b32_e32 v7, v162
	v_pk_add_f32 v[76:77], v[78:79], v[76:77]
	v_mov_b32_e32 v78, v31
	v_mov_b32_e32 v79, v31
	s_mov_b32 s52, s29
	s_mov_b32 s53, s38
	v_pk_fma_f32 v[160:161], v[160:161], s[50:51], v[6:7]
	ds_write2_b32 v68, v76, v77 offset0:4 offset1:5
	v_mov_b32_e32 v76, v58
	v_mov_b32_e32 v77, v58
	s_mov_b32 s50, s13
	s_mov_b32 s51, s20
	v_pk_mul_f32 v[78:79], v[78:79], s[52:53]
	v_mov_b32_e32 v80, v56
	v_mov_b32_e32 v81, v56
	s_mov_b32 s52, s14
	s_mov_b32 s53, s9
	v_pk_fma_f32 v[82:83], v[76:77], s[50:51], v[78:79]
	v_pk_fma_f32 v[86:87], v[80:81], s[52:53], v[84:85]
	v_pk_add_f32 v[82:83], v[110:111], v[82:83]
	s_mov_b32 s54, s16
	v_pk_add_f32 v[82:83], v[82:83], v[86:87]
	v_mov_b32_e32 v86, v50
	v_mov_b32_e32 v87, v50
	s_mov_b32 s55, s8
	v_pk_fma_f32 v[88:89], v[86:87], s[54:55], v[94:95]
	v_mov_b32_e32 v48, v49
	s_mov_b32 s58, s38
	s_mov_b32 s59, s42
	v_pk_add_f32 v[82:83], v[88:89], v[82:83]
	v_mov_b32_e32 v88, v52
	v_mov_b32_e32 v89, v52
	s_mov_b32 s56, s20
	s_mov_b32 s57, s13
	v_pk_mul_f32 v[90:91], v[48:49], s[58:59]
	s_mov_b32 s58, s8
	v_pk_fma_f32 v[92:93], v[88:89], s[56:57], v[90:91]
	s_mov_b32 s59, s16
	v_pk_add_f32 v[82:83], v[92:93], v[82:83]
	v_mov_b32_e32 v92, v72
	v_mov_b32_e32 v93, v72
	v_pk_fma_f32 v[96:97], v[92:93], s[58:59], v[102:103]
	v_pk_add_f32 v[164:165], v[12:13], v[36:37]
	v_pk_add_f32 v[82:83], v[96:97], v[82:83]
	v_mov_b32_e32 v96, v74
	v_mov_b32_e32 v97, v74
	s_mov_b32 s60, s19
	s_mov_b32 s61, s12
	v_pk_add_f32 v[164:165], v[164:165], v[44:45]
	v_pk_fma_f32 v[98:99], v[96:97], s[60:61], v[114:115]
	v_mov_b32_e32 v60, v61
	s_mov_b32 s64, s28
	s_mov_b32 s65, s37
	v_pk_add_f32 v[164:165], v[164:165], v[42:43]
	v_pk_add_f32 v[82:83], v[98:99], v[82:83]
	v_mov_b32_e32 v98, v62
	v_mov_b32_e32 v99, v62
	s_mov_b32 s62, s12
	s_mov_b32 s63, s19
	v_pk_mul_f32 v[100:101], v[60:61], s[64:65]
	v_pk_add_f32 v[164:165], v[164:165], v[40:41]
	v_pk_fma_f32 v[104:105], v[98:99], s[62:63], v[100:101]
	v_mov_b32_e32 v64, v65
	v_pk_add_f32 v[164:165], v[164:165], v[38:39]
	v_pk_add_f32 v[82:83], v[104:105], v[82:83]
	v_mov_b32_e32 v104, v66
	v_mov_b32_e32 v105, v66
	s_mov_b32 s64, s9
	s_mov_b32 s65, s14
	v_pk_mul_f32 v[106:107], v[64:65], s[46:47]
	v_pk_add_f32 v[164:165], v[164:165], v[34:35]
	v_pk_fma_f32 v[108:109], v[104:105], s[64:65], v[106:107]
	v_pk_add_f32 v[164:165], v[164:165], v[32:33]
	v_mul_f32_e32 v7, 0xbeb8f4ab, v31
	v_mov_b32_e32 v160, v0
	v_pk_add_f32 v[82:83], v[108:109], v[82:83]
	v_mul_f32_e32 v0, 0xbf7ba420, v58
	v_mul_f32_e32 v12, 0xbe3c28d5, v31
	v_mov_b32_e32 v165, v7
	v_mul_f32_e32 v167, 0x3f6eb680, v58
	ds_write2_b32 v68, v82, v83 offset0:6 offset1:7
	v_fma_f32 v7, v58, s16, -v7
	v_pk_add_f32 v[58:59], v[0:1], v[12:13]
	v_pk_add_f32 v[82:83], v[0:1], v[12:13] neg_lo:[0,1] neg_hi:[0,1]
	v_mul_f32_e32 v0, 0x3f6eb680, v56
	v_mul_f32_e32 v12, 0x3eb8f4ab, v55
	v_mov_b32_e32 v59, v82
	v_pk_add_f32 v[54:55], v[0:1], v[12:13]
	v_pk_add_f32 v[56:57], v[0:1], v[12:13] neg_lo:[0,1] neg_hi:[0,1]
	v_mul_f32_e32 v0, 0xbf59a7d5, v50
	v_mul_f32_e32 v12, 0xbf06c442, v47
	v_mov_b32_e32 v55, v56
	v_pk_add_f32 v[56:57], v[110:111], v[58:59]
	v_pk_add_f32 v[46:47], v[0:1], v[12:13]
	v_pk_add_f32 v[50:51], v[0:1], v[12:13] neg_lo:[0,1] neg_hi:[0,1]
	v_mul_f32_e32 v0, 0x3f3d2fb0, v52
	v_mul_f32_e32 v12, 0x3f2c7751, v49
	v_pk_add_f32 v[54:55], v[56:57], v[54:55]
	v_mov_b32_e32 v47, v50
	v_pk_add_f32 v[48:49], v[0:1], v[12:13]
	v_pk_add_f32 v[50:51], v[0:1], v[12:13] neg_lo:[0,1] neg_hi:[0,1]
	v_pk_add_f32 v[46:47], v[46:47], v[54:55]
	v_mov_b32_e32 v49, v50
	v_mul_f32_e32 v0, 0xbf1a4643, v72
	v_mul_f32_e32 v12, 0xbf4c4adb, v69
	v_pk_add_f32 v[46:47], v[48:49], v[46:47]
	v_pk_add_f32 v[48:49], v[0:1], v[12:13]
	v_pk_add_f32 v[50:51], v[0:1], v[12:13] neg_lo:[0,1] neg_hi:[0,1]
	v_mul_f32_e32 v0, 0x3ee437d1, v74
	v_mov_b32_e32 v49, v50
	v_mul_f32_e32 v12, 0x3f65296c, v71
	v_pk_add_f32 v[46:47], v[48:49], v[46:47]
	v_pk_add_f32 v[48:49], v[0:1], v[12:13]
	v_pk_add_f32 v[50:51], v[0:1], v[12:13] neg_lo:[0,1] neg_hi:[0,1]
	v_sub_f32_e32 v0, v157, v156
	v_add_f32_e32 v0, v0, v53
	v_fma_f32 v12, v66, s13, -v63
	v_add_f32_e32 v53, v12, v0
	v_sub_f32_e32 v0, v117, v116
	v_add_f32_e32 v7, v15, v7
	v_add_f32_e32 v0, v7, v0
	v_sub_f32_e32 v7, v119, v118
	v_add_f32_e32 v0, v7, v0
	v_sub_f32_e32 v7, v121, v120
	v_add_f32_e32 v0, v7, v0
	v_sub_f32_e32 v7, v123, v122
	v_add_f32_e32 v0, v7, v0
	v_sub_f32_e32 v7, v127, v126
	v_add_f32_e32 v0, v7, v0
	v_sub_f32_e32 v7, v129, v128
	v_add_f32_e32 v7, v7, v0
	v_sub_f32_e32 v49, v163, v162
	v_mul_f32_e32 v0, 0xbe8c1d8e, v62
	v_mul_f32_e32 v12, 0xbf763a35, v61
	v_add_f32_e32 v55, v49, v7
	v_mov_b32_e32 v49, v50
	v_pk_add_f32 v[46:47], v[48:49], v[46:47]
	v_pk_add_f32 v[48:49], v[0:1], v[12:13]
	v_pk_add_f32 v[50:51], v[0:1], v[12:13] neg_lo:[0,1] neg_hi:[0,1]
	v_mul_f32_e32 v52, 0x3dbcf732, v66
	v_mul_f32_e32 v54, 0x3f7ee86f, v65
	v_mov_b32_e32 v49, v50
	v_pk_add_f32 v[46:47], v[48:49], v[46:47]
	v_pk_add_f32 v[48:49], v[52:53], v[54:55]
	v_pk_add_f32 v[50:51], v[52:53], v[54:55] neg_lo:[0,1] neg_hi:[0,1]
	v_mov_b32_e32 v166, v16
	v_mov_b32_e32 v49, v50
	v_pk_add_f32 v[46:47], v[48:49], v[46:47]
	v_pk_add_f32 v[164:165], v[164:165], v[166:167]
	ds_write2_b32 v68, v46, v47 offset0:8 offset1:9
	v_pk_fma_f32 v[46:47], v[76:77], s[50:51], v[78:79] neg_lo:[0,0,1] neg_hi:[0,0,1]
	v_pk_add_f32 v[164:165], v[164:165], v[14:15]
	v_mov_b32_e32 v144, v20
	v_pk_add_f32 v[46:47], v[110:111], v[46:47]
	v_pk_fma_f32 v[48:49], v[80:81], s[52:53], v[84:85] neg_lo:[0,0,1] neg_hi:[0,0,1]
	v_pk_add_f32 v[144:145], v[164:165], v[144:145]
	v_mov_b32_e32 v146, v18
	v_pk_add_f32 v[46:47], v[46:47], v[48:49]
	v_pk_fma_f32 v[48:49], v[86:87], s[54:55], v[94:95] neg_lo:[0,0,1] neg_hi:[0,0,1]
	v_pk_add_f32 v[144:145], v[144:145], v[146:147]
	v_mov_b32_e32 v148, v26
	v_pk_add_f32 v[46:47], v[48:49], v[46:47]
	v_pk_fma_f32 v[48:49], v[88:89], s[56:57], v[90:91] neg_lo:[0,0,1] neg_hi:[0,0,1]
	v_pk_add_f32 v[144:145], v[144:145], v[148:149]
	v_mov_b32_e32 v150, v24
	v_pk_add_f32 v[46:47], v[48:49], v[46:47]
	v_pk_fma_f32 v[48:49], v[92:93], s[58:59], v[102:103] neg_lo:[0,0,1] neg_hi:[0,0,1]
	v_pk_add_f32 v[144:145], v[144:145], v[150:151]
	v_mov_b32_e32 v152, v22
	v_pk_add_f32 v[46:47], v[48:49], v[46:47]
	v_pk_fma_f32 v[48:49], v[96:97], s[60:61], v[114:115] neg_lo:[0,0,1] neg_hi:[0,0,1]
	v_pk_add_f32 v[144:145], v[144:145], v[152:153]
	v_mov_b32_e32 v154, v2
	v_pk_add_f32 v[46:47], v[48:49], v[46:47]
	v_pk_fma_f32 v[48:49], v[98:99], s[62:63], v[100:101] neg_lo:[0,0,1] neg_hi:[0,0,1]
	v_pk_add_f32 v[144:145], v[144:145], v[154:155]
	v_pk_add_f32 v[46:47], v[48:49], v[46:47]
	v_pk_fma_f32 v[48:49], v[104:105], s[64:65], v[106:107] neg_lo:[0,0,1] neg_hi:[0,0,1]
	v_pk_add_f32 v[144:145], v[160:161], v[144:145]
	v_pk_add_f32 v[46:47], v[48:49], v[46:47]
	ds_write2_b32 v68, v144, v145 offset1:1
	v_mov_b32_e32 v0, v47
	v_mov_b32_e32 v7, v46
	ds_write2_b32 v68, v47, v46 offset0:10 offset1:11
	ds_write_b32 v68, v53 offset:48
	ds_write2_b32 v68, v10, v11 offset0:13 offset1:14
	ds_write2_b32 v68, v13, v55 offset0:15 offset1:16
.LBB0_13:
	s_or_b64 exec, exec, s[48:49]
	v_pk_add_f32 v[46:47], v[28:29], v[36:37]
	v_mov_b32_e32 v36, v35
	v_pk_add_f32 v[46:47], v[46:47], v[44:45]
	s_mov_b32 s3, s16
	v_pk_add_f32 v[46:47], v[46:47], v[42:43]
	v_mov_b32_e32 v48, v43
	v_pk_add_f32 v[46:47], v[46:47], v[40:41]
	v_mov_b32_e32 v49, v45
	;; [unrolled: 2-line block ×3, first 2 shown]
	v_mov_b32_e32 v0, v47
	v_pk_add_f32 v[68:69], v[0:1], v[36:37]
	v_mov_b32_e32 v0, v33
	v_mov_b32_e32 v44, v22
	;; [unrolled: 1-line block ×3, first 2 shown]
	v_pk_add_f32 v[96:97], v[68:69], v[0:1]
	v_pk_mul_f32 v[36:37], v[68:69], s[2:3]
	v_pk_add_f32 v[66:67], v[42:43], v[44:45] neg_lo:[0,1] neg_hi:[0,1]
	v_mov_b32_e32 v42, v39
	v_mov_b32_e32 v43, v41
	;; [unrolled: 1-line block ×8, first 2 shown]
	v_pk_add_f32 v[64:65], v[38:39], v[40:41] neg_lo:[0,1] neg_hi:[0,1]
	v_mul_f32_e32 v52, 0x3f3d2fb0, v69
	v_mov_b32_e32 v36, v33
	v_mov_b32_e32 v37, v35
	;; [unrolled: 1-line block ×4, first 2 shown]
	s_mov_b32 s41, s39
	s_mov_b32 s48, s26
	;; [unrolled: 1-line block ×3, first 2 shown]
	v_mov_b32_e32 v53, v97
	v_pk_add_f32 v[62:63], v[48:49], v[50:51]
	v_pk_add_f32 v[72:73], v[36:37], v[38:39]
	s_mov_b32 s54, s8
	s_mov_b32 s55, s19
	v_pk_mul_f32 v[98:99], v[66:67], s[48:49] op_sel:[1,0]
	s_mov_b32 s48, s29
	s_mov_b32 s49, s27
	v_pk_fma_f32 v[38:39], v[30:31], s[40:41], v[52:53] op_sel_hi:[0,1,1]
	v_mov_b32_e32 v44, v27
	v_mov_b32_e32 v45, v25
	v_pk_add_f32 v[48:49], v[16:17], v[14:15] neg_lo:[0,1] neg_hi:[0,1]
	v_pk_fma_f32 v[14:15], v[62:63], s[54:55], v[98:99] op_sel:[1,0,0]
	s_mov_b32 s56, s13
	s_mov_b32 s57, s9
	v_pk_mul_f32 v[104:105], v[66:67], s[48:49] op_sel_hi:[0,1]
	s_mov_b32 s48, s28
	s_mov_b32 s49, s26
	v_pk_add_f32 v[38:39], v[28:29], v[38:39] op_sel:[1,0]
	v_pk_add_f32 v[60:61], v[42:43], v[44:45]
	v_mov_b32_e32 v0, v17
	v_mov_b32_e32 v33, v34
	;; [unrolled: 1-line block ×4, first 2 shown]
	v_pk_fma_f32 v[16:17], v[62:63], s[56:57], v[104:105] op_sel_hi:[0,1,1]
	s_mov_b32 s58, s12
	s_mov_b32 s59, s8
	v_pk_mul_f32 v[106:107], v[64:65], s[48:49] op_sel:[1,0]
	s_mov_b32 s3, 0xbf763a35
	v_pk_add_f32 v[14:15], v[38:39], v[14:15]
	v_pk_add_f32 v[74:75], v[32:33], v[34:35] neg_lo:[0,1] neg_hi:[0,1]
	v_pk_fma_f32 v[32:33], v[60:61], s[58:59], v[106:107] op_sel:[1,0,0]
	s_mov_b32 s52, s20
	s_mov_b32 s53, s14
	v_pk_mul_f32 v[108:109], v[64:65], s[2:3] op_sel_hi:[0,1]
	s_mov_b32 s48, s30
	s_mov_b32 s49, s29
	v_pk_add_f32 v[14:15], v[16:17], v[14:15]
	v_pk_fma_f32 v[34:35], v[60:61], s[52:53], v[108:109] op_sel_hi:[0,1,1]
	s_mov_b32 s50, s14
	s_mov_b32 s51, s13
	v_pk_mul_f32 v[110:111], v[74:75], s[48:49] op_sel:[1,0]
	s_mov_b32 s47, s38
	v_pk_add_f32 v[14:15], v[32:33], v[14:15]
	v_pk_fma_f32 v[36:37], v[72:73], s[50:51], v[110:111] op_sel:[1,0,0]
	s_mov_b32 s48, s9
	s_mov_b32 s49, s20
	v_pk_mul_f32 v[114:115], v[74:75], s[46:47] op_sel_hi:[0,1]
	v_pk_add_f32 v[14:15], v[34:35], v[14:15]
	s_mov_b32 s60, s34
	s_mov_b32 s61, s28
	v_pk_add_f32 v[46:47], v[0:1], v[28:29]
	v_pk_add_f32 v[14:15], v[36:37], v[14:15]
	v_pk_fma_f32 v[16:17], v[72:73], s[48:49], v[114:115] op_sel_hi:[0,1,1]
	s_mov_b32 s46, s16
	s_mov_b32 s47, s12
	v_pk_mul_f32 v[94:95], v[48:49], s[60:61] op_sel_hi:[0,1]
	v_pk_add_f32 v[14:15], v[16:17], v[14:15]
	v_pk_fma_f32 v[16:17], v[46:47], s[46:47], v[94:95] op_sel_hi:[0,1,1]
	v_pk_mul_f32 v[88:89], v[30:31], s[26:27] op_sel_hi:[0,1]
	v_pk_add_f32 v[14:15], v[16:17], v[14:15]
	v_pk_fma_f32 v[16:17], v[68:69], s[8:9], v[88:89] op_sel:[1,0,0]
	v_pk_mul_f32 v[92:93], v[66:67], s[28:29] op_sel:[1,0]
	v_pk_add_f32 v[16:17], v[28:29], v[16:17] op_sel:[1,0]
	v_pk_fma_f32 v[32:33], v[62:63], s[12:13], v[92:93] op_sel:[1,0,0]
	v_pk_mul_f32 v[84:85], v[66:67], s[30:31] op_sel_hi:[0,1]
	v_pk_add_f32 v[16:17], v[16:17], v[32:33]
	v_pk_fma_f32 v[32:33], v[62:63], s[14:15], v[84:85] op_sel_hi:[0,1,1]
	v_pk_mul_f32 v[90:91], v[64:65], s[34:35] op_sel:[1,0]
	v_pk_add_f32 v[16:17], v[32:33], v[16:17]
	v_pk_fma_f32 v[32:33], v[60:61], s[16:17], v[90:91] op_sel:[1,0,0]
	v_pk_mul_f32 v[44:45], v[64:65], s[36:37] op_sel_hi:[0,1]
	v_pk_add_f32 v[16:17], v[32:33], v[16:17]
	v_pk_fma_f32 v[32:33], v[60:61], s[18:19], v[44:45] op_sel_hi:[0,1,1]
	v_pk_mul_f32 v[86:87], v[74:75], s[38:39] op_sel:[1,0]
	v_pk_add_f32 v[16:17], v[32:33], v[16:17]
	v_pk_fma_f32 v[32:33], v[72:73], s[20:21], v[86:87] op_sel:[1,0,0]
	v_pk_mul_f32 v[82:83], v[74:75], s[42:43] op_sel_hi:[0,1]
	v_lshl_add_u32 v7, v6, 2, 0
	v_pk_add_f32 v[16:17], v[32:33], v[16:17]
	v_pk_fma_f32 v[32:33], v[72:73], s[22:23], v[82:83] op_sel_hi:[0,1,1]
	v_add_u32_e32 v12, 0x400, v7
	v_add_u32_e32 v18, 0x800, v7
	;; [unrolled: 1-line block ×5, first 2 shown]
	v_pk_add_f32 v[16:17], v[32:33], v[16:17]
	s_waitcnt lgkmcnt(0)
	s_barrier
	ds_read2_b32 v[32:33], v7 offset1:136
	ds_read2_b32 v[42:43], v12 offset0:16 offset1:152
	ds_read2_b32 v[38:39], v18 offset0:32 offset1:168
	ds_read2_b32 v[34:35], v22 offset0:48 offset1:184
	ds_read2_b32 v[36:37], v24 offset0:64 offset1:200
	ds_read2_b32 v[40:41], v26 offset0:80 offset1:216
	ds_read_b32 v45, v7 offset:6528
	v_pk_mul_f32 v[70:71], v[48:49], s[44:45] op_sel_hi:[0,1]
	v_pk_fma_f32 v[50:51], v[46:47], s[24:25], v[70:71] op_sel_hi:[0,1,1]
	v_pk_add_f32 v[16:17], v[50:51], v[16:17]
	s_waitcnt lgkmcnt(0)
	s_barrier
	s_and_saveexec_b64 s[26:27], s[0:1]
	s_cbranch_execz .LBB0_15
; %bb.14:
	s_mov_b32 s30, 0x3f2c7751
	v_mov_b32_e32 v126, v69
	v_mov_b32_e32 v127, v30
	s_mov_b32 s2, 0xbe8c1d8e
	s_mov_b32 s34, 0x3f3d2fb0
	;; [unrolled: 1-line block ×3, first 2 shown]
	v_pk_mul_f32 v[128:129], v[126:127], s[2:3]
	s_mov_b32 s35, 0xbf59a7d5
	v_pk_mul_f32 v[102:103], v[66:67], s[30:31]
	v_mov_b32_e32 v2, v129
	s_mov_b32 s0, 0xbe3c28d5
	v_pk_fma_f32 v[100:101], v[62:63], s[34:35], v[102:103] neg_lo:[0,0,1] neg_hi:[0,0,1]
	s_mov_b32 s36, 0xbf7ba420
	s_mov_b32 s1, 0xbf65296c
	v_pk_fma_f32 v[126:127], v[126:127], s[2:3], v[2:3] neg_lo:[0,0,1] neg_hi:[0,0,1]
	v_mov_b32_e32 v2, v29
	s_mov_b32 s37, 0x3ee437d1
	v_pk_mul_f32 v[124:125], v[64:65], s[0:1]
	v_pk_add_f32 v[126:127], v[2:3], v[126:127]
	v_mov_b32_e32 v20, v101
	s_mov_b32 s38, 0xbeb8f4ab
	s_mov_b32 s28, 0x3f6eb680
	v_pk_fma_f32 v[112:113], v[60:61], s[36:37], v[124:125] neg_lo:[0,0,1] neg_hi:[0,0,1]
	v_pk_add_f32 v[126:127], v[126:127], v[20:21]
	s_mov_b32 s39, 0x3f7ee86f
	v_pk_mul_f32 v[122:123], v[60:61], s[58:59] op_sel:[1,0]
	s_mov_b32 s29, 0x3dbcf732
	v_pk_add_f32 v[100:101], v[100:101], v[126:127]
	v_mov_b32_e32 v20, v113
	v_pk_mul_f32 v[126:127], v[74:75], s[38:39]
	v_pk_mul_f32 v[116:117], v[30:31], s[40:41] op_sel_hi:[0,1]
	v_pk_add_f32 v[100:101], v[20:21], v[100:101]
	v_pk_fma_f32 v[130:131], v[72:73], s[28:29], v[126:127] neg_lo:[0,0,1] neg_hi:[0,0,1]
	v_pk_add_f32 v[106:107], v[122:123], v[106:107] neg_lo:[0,1] neg_hi:[0,1]
	v_pk_mul_f32 v[122:123], v[72:73], s[48:49] op_sel_hi:[0,1]
	v_pk_mul_f32 v[118:119], v[62:63], s[54:55] op_sel:[1,0]
	v_pk_add_f32 v[100:101], v[112:113], v[100:101]
	v_mov_b32_e32 v20, v131
	v_pk_add_f32 v[114:115], v[122:123], v[114:115] neg_lo:[0,1] neg_hi:[0,1]
	v_pk_add_f32 v[122:123], v[96:97], v[0:1]
	v_pk_add_f32 v[96:97], v[96:97], v[116:117] neg_lo:[0,1] neg_hi:[0,1]
	v_pk_mul_f32 v[120:121], v[62:63], s[56:57] op_sel_hi:[0,1]
	v_pk_add_f32 v[100:101], v[20:21], v[100:101]
	v_add_f32_e32 v20, v128, v129
	v_pk_add_f32 v[118:119], v[118:119], v[98:99] neg_lo:[0,1] neg_hi:[0,1]
	v_pk_mul_f32 v[98:99], v[72:73], s[50:51] op_sel:[1,0]
	v_mov_b32_e32 v123, v97
	v_pk_fma_f32 v[102:103], v[62:63], s[34:35], v[102:103]
	v_add_f32_e32 v20, v29, v20
	v_pk_add_f32 v[120:121], v[120:121], v[104:105] neg_lo:[0,1] neg_hi:[0,1]
	v_pk_add_f32 v[110:111], v[98:99], v[110:111] neg_lo:[0,1] neg_hi:[0,1]
	v_mov_b32_e32 v98, v29
	v_mov_b32_e32 v99, v29
	v_pk_add_f32 v[28:29], v[122:123], v[28:29]
	v_mov_b32_e32 v118, v21
	v_add_f32_e32 v20, v20, v103
	v_pk_mul_f32 v[128:129], v[60:61], s[52:53] op_sel_hi:[0,1]
	v_pk_add_f32 v[28:29], v[28:29], v[118:119]
	v_mov_b32_e32 v120, v19
	v_add_f32_e32 v20, v102, v20
	v_pk_fma_f32 v[102:103], v[60:61], s[36:37], v[124:125]
	v_pk_add_f32 v[108:109], v[128:129], v[108:109] neg_lo:[0,1] neg_hi:[0,1]
	v_pk_add_f32 v[28:29], v[28:29], v[120:121]
	v_mov_b32_e32 v106, v27
	v_add_f32_e32 v20, v103, v20
	v_pk_add_f32 v[28:29], v[28:29], v[106:107]
	v_mov_b32_e32 v108, v25
	v_add_f32_e32 v20, v102, v20
	v_pk_fma_f32 v[102:103], v[72:73], s[28:29], v[126:127]
	v_pk_mul_f32 v[96:97], v[46:47], s[46:47] op_sel_hi:[0,1]
	v_pk_add_f32 v[28:29], v[28:29], v[108:109]
	v_mov_b32_e32 v110, v23
	v_add_f32_e32 v20, v103, v20
	v_pk_add_f32 v[28:29], v[28:29], v[110:111]
	v_mov_b32_e32 v114, v3
	v_pk_add_f32 v[94:95], v[96:97], v[94:95] neg_lo:[0,1] neg_hi:[0,1]
	v_add_f32_e32 v31, v102, v20
	v_pk_mul_f32 v[122:123], v[68:69], s[8:9] op_sel:[1,0]
	v_pk_mul_f32 v[20:21], v[62:63], s[12:13] op_sel:[1,0]
	v_pk_add_f32 v[28:29], v[28:29], v[114:115]
	v_mov_b32_e32 v94, v1
	v_pk_add_f32 v[28:29], v[94:95], v[28:29]
	v_mov_b32_e32 v94, v122
	v_mov_b32_e32 v95, v20
	;; [unrolled: 1-line block ×3, first 2 shown]
	v_pk_mul_f32 v[118:119], v[62:63], s[14:15] op_sel_hi:[0,1]
	v_pk_mul_f32 v[132:133], v[60:61], s[16:17] op_sel:[1,0]
	v_pk_add_f32 v[20:21], v[94:95], v[88:89] neg_lo:[0,1] neg_hi:[0,1]
	v_mov_b32_e32 v133, v118
	v_pk_add_f32 v[2:3], v[2:3], v[20:21]
	v_mov_b32_e32 v20, v21
	v_mov_b32_e32 v91, v84
	v_pk_add_f32 v[2:3], v[2:3], v[20:21]
	v_pk_add_f32 v[20:21], v[132:133], v[90:91] neg_lo:[0,1] neg_hi:[0,1]
	v_pk_mul_f32 v[120:121], v[60:61], s[18:19] op_sel_hi:[0,1]
	v_pk_mul_f32 v[134:135], v[72:73], s[20:21] op_sel:[1,0]
	v_mov_b32_e32 v84, v21
	v_pk_add_f32 v[2:3], v[84:85], v[2:3]
	v_mov_b32_e32 v135, v120
	v_mov_b32_e32 v87, v44
	v_pk_add_f32 v[2:3], v[20:21], v[2:3]
	v_pk_add_f32 v[20:21], v[134:135], v[86:87] neg_lo:[0,1] neg_hi:[0,1]
	v_mov_b32_e32 v80, v30
	v_mov_b32_e32 v44, v21
	;; [unrolled: 1-line block ×5, first 2 shown]
	v_pk_mul_f32 v[106:107], v[72:73], s[22:23] op_sel_hi:[0,1]
	s_mov_b32 s13, 0x3f65296c
	v_pk_add_f32 v[2:3], v[44:45], v[2:3]
	v_mov_b32_e32 v53, v123
	s_mov_b32 s12, s30
	s_mov_b32 s21, 0x3f4c4adb
	;; [unrolled: 1-line block ×3, first 2 shown]
	v_mov_b32_e32 v54, v63
	v_mov_b32_e32 v55, v63
	s_mov_b32 s9, 0xbf1a4643
	v_pk_add_f32 v[2:3], v[20:21], v[2:3]
	v_pk_add_f32 v[20:21], v[106:107], v[82:83] neg_lo:[0,1] neg_hi:[0,1]
	v_pk_fma_f32 v[52:53], v[80:81], s[12:13], v[52:53]
	s_mov_b32 s8, s29
	v_pk_mul_f32 v[82:83], v[78:79], s[20:21]
	v_mov_b32_e32 v76, v66
	v_mov_b32_e32 v77, v66
	v_pk_mul_f32 v[136:137], v[46:47], s[24:25] op_sel_hi:[0,1]
	v_pk_add_f32 v[52:53], v[98:99], v[52:53]
	v_pk_fma_f32 v[82:83], v[54:55], s[8:9], v[82:83]
	s_mov_b32 s24, s21
	s_mov_b32 s25, s0
	v_mov_b32_e32 v56, v62
	v_mov_b32_e32 v57, v62
	v_pk_add_f32 v[52:53], v[52:53], v[82:83]
	s_mov_b32 s22, s9
	s_mov_b32 s23, s36
	v_pk_mul_f32 v[82:83], v[76:77], s[24:25]
	v_mov_b32_e32 v112, v65
	v_mov_b32_e32 v113, v65
	v_pk_fma_f32 v[82:83], v[56:57], s[22:23], v[82:83]
	s_mov_b32 s24, 0x3e3c28d5
	s_mov_b32 s25, s3
	v_mov_b32_e32 v58, v61
	v_mov_b32_e32 v59, v61
	s_mov_b32 s14, 0xbf06c442
	v_pk_add_f32 v[52:53], v[82:83], v[52:53]
	s_mov_b32 s22, s36
	s_mov_b32 s23, s2
	v_pk_mul_f32 v[82:83], v[112:113], s[24:25]
	v_mov_b32_e32 v124, v64
	v_mov_b32_e32 v125, v64
	s_mov_b32 s15, 0xbf2c7751
	v_pk_fma_f32 v[82:83], v[58:59], s[22:23], v[82:83]
	v_pk_add_f32 v[130:131], v[130:131], v[100:101]
	v_mov_b32_e32 v100, v60
	v_mov_b32_e32 v101, v60
	v_pk_add_f32 v[52:53], v[82:83], v[52:53]
	s_mov_b32 s22, s35
	s_mov_b32 s23, s34
	v_pk_mul_f32 v[82:83], v[124:125], s[14:15]
	v_mov_b32_e32 v126, v75
	v_mov_b32_e32 v127, v75
	s_mov_b32 s19, 0x3eb8f4ab
	v_pk_fma_f32 v[82:83], v[100:101], s[22:23], v[82:83]
	s_mov_b32 s18, s3
	v_mov_b32_e32 v102, v73
	v_mov_b32_e32 v103, v73
	v_pk_add_f32 v[52:53], v[82:83], v[52:53]
	s_mov_b32 s22, s2
	s_mov_b32 s23, s28
	v_pk_mul_f32 v[82:83], v[126:127], s[18:19]
	v_mov_b32_e32 v128, v74
	v_mov_b32_e32 v129, v74
	v_pk_fma_f32 v[82:83], v[102:103], s[22:23], v[82:83]
	s_mov_b32 s22, s1
	s_mov_b32 s23, s39
	v_mov_b32_e32 v104, v72
	v_mov_b32_e32 v105, v72
	v_pk_add_f32 v[52:53], v[82:83], v[52:53]
	s_mov_b32 s18, s37
	s_mov_b32 s19, s29
	v_pk_mul_f32 v[82:83], v[128:129], s[22:23]
	v_mov_b32_e32 v49, v48
	v_pk_fma_f32 v[82:83], v[104:105], s[18:19], v[82:83]
	s_mov_b32 s22, s38
	s_mov_b32 s23, s31
	v_mov_b32_e32 v116, v46
	v_mov_b32_e32 v117, v46
	v_pk_add_f32 v[52:53], v[82:83], v[52:53]
	s_mov_b32 s18, s28
	s_mov_b32 s19, s35
	v_pk_mul_f32 v[82:83], v[48:49], s[22:23]
	v_mul_f32_e32 v85, 0xbf4c4adb, v48
	v_pk_fma_f32 v[82:83], v[116:117], s[18:19], v[82:83]
	v_mov_b32_e32 v84, v20
	v_pk_add_f32 v[52:53], v[82:83], v[52:53]
	v_mul_f32_e32 v83, 0xbf1a4643, v46
	v_mov_b32_e32 v82, v2
	s_mov_b32 s16, 0xbf4c4adb
	v_pk_add_f32 v[70:71], v[136:137], v[70:71] neg_lo:[0,1] neg_hi:[0,1]
	v_pk_add_f32 v[2:3], v[2:3], v[20:21]
	v_pk_add_f32 v[20:21], v[82:83], v[84:85] neg_lo:[0,1] neg_hi:[0,1]
	s_mov_b32 s17, s14
	s_mov_b32 s20, s14
	;; [unrolled: 1-line block ×4, first 2 shown]
	v_mov_b32_e32 v50, v69
	v_mov_b32_e32 v51, v69
	;; [unrolled: 1-line block ×4, first 2 shown]
	v_pk_mul_f32 v[20:21], v[80:81], s[16:17]
	s_mov_b32 s12, 0x3f763a35
	v_pk_mul_f32 v[90:91], v[126:127], s[14:15]
	s_mov_b32 s14, s9
	s_mov_b32 s15, s35
	v_pk_add_f32 v[2:3], v[2:3], v[70:71]
	s_mov_b32 s16, s2
	s_mov_b32 s17, s37
	v_pk_mul_f32 v[70:71], v[78:79], s[12:13]
	s_mov_b32 s19, 0xbf7ee86f
	s_mov_b32 s18, s38
	v_pk_fma_f32 v[94:95], v[50:51], s[14:15], v[20:21] neg_lo:[0,0,1] neg_hi:[0,0,1]
	v_pk_fma_f32 v[78:79], v[54:55], s[16:17], v[70:71] neg_lo:[0,0,1] neg_hi:[0,0,1]
	v_pk_mul_f32 v[76:77], v[76:77], s[18:19]
	v_pk_add_f32 v[94:95], v[98:99], v[94:95]
	v_pk_fma_f32 v[20:21], v[50:51], s[14:15], v[20:21]
	v_fmac_f32_e32 v85, 0xbf1a4643, v46
	v_pk_fma_f32 v[80:81], v[56:57], s[28:29], v[76:77] neg_lo:[0,0,1] neg_hi:[0,0,1]
	s_mov_b32 s8, s35
	v_pk_mul_f32 v[82:83], v[112:113], s[20:21]
	s_mov_b32 s20, s39
	s_mov_b32 s21, s38
	v_pk_add_f32 v[78:79], v[94:95], v[78:79]
	v_pk_fma_f32 v[54:55], v[54:55], s[16:17], v[70:71]
	v_pk_add_f32 v[20:21], v[98:99], v[20:21]
	v_add_f32_e32 v19, v85, v31
	v_pk_fma_f32 v[84:85], v[58:59], s[8:9], v[82:83] neg_lo:[0,0,1] neg_hi:[0,0,1]
	s_mov_b32 s18, s29
	s_mov_b32 s19, s28
	v_pk_mul_f32 v[86:87], v[124:125], s[20:21]
	v_pk_add_f32 v[78:79], v[80:81], v[78:79]
	v_pk_fma_f32 v[56:57], v[56:57], s[28:29], v[76:77]
	v_pk_add_f32 v[20:21], v[20:21], v[54:55]
	v_pk_fma_f32 v[88:89], v[100:101], s[18:19], v[86:87] neg_lo:[0,0,1] neg_hi:[0,0,1]
	s_mov_b32 s20, s34
	s_mov_b32 s21, s36
	v_pk_add_f32 v[78:79], v[84:85], v[78:79]
	s_mov_b32 s1, s30
	v_pk_fma_f32 v[58:59], v[58:59], s[8:9], v[82:83]
	v_pk_add_f32 v[20:21], v[56:57], v[20:21]
	v_pk_fma_f32 v[92:93], v[102:103], s[20:21], v[90:91] neg_lo:[0,0,1] neg_hi:[0,0,1]
	v_pk_add_f32 v[78:79], v[88:89], v[78:79]
	s_mov_b32 s22, s36
	s_mov_b32 s23, s34
	v_pk_mul_f32 v[80:81], v[128:129], s[0:1]
	v_pk_fma_f32 v[70:71], v[100:101], s[18:19], v[86:87]
	v_pk_add_f32 v[20:21], v[58:59], v[20:21]
	v_pk_add_f32 v[78:79], v[92:93], v[78:79]
	v_pk_fma_f32 v[84:85], v[104:105], s[22:23], v[80:81] neg_lo:[0,0,1] neg_hi:[0,0,1]
	s_mov_b32 s1, s2
	s_mov_b32 s2, s13
	v_pk_fma_f32 v[76:77], v[102:103], s[20:21], v[90:91]
	v_pk_add_f32 v[20:21], v[70:71], v[20:21]
	v_mul_f32_e32 v0, 0xbe3c28d5, v30
	v_mul_f32_e32 v30, 0x3f6eb680, v63
	;; [unrolled: 1-line block ×3, first 2 shown]
	v_pk_add_f32 v[78:79], v[84:85], v[78:79]
	s_mov_b32 s0, s37
	v_pk_mul_f32 v[84:85], v[48:49], s[2:3]
	v_pk_add_f32 v[20:21], v[76:77], v[20:21]
	v_pk_fma_f32 v[50:51], v[104:105], s[22:23], v[80:81]
	v_mul_f32_e32 v62, 0xbf59a7d5, v62
	v_mul_f32_e32 v66, 0xbf06c442, v66
	v_pk_add_f32 v[20:21], v[50:51], v[20:21]
	v_pk_fma_f32 v[50:51], v[116:117], s[0:1], v[84:85]
	v_mul_f32_e32 v44, 0x3dbcf732, v46
	v_mul_f32_e32 v46, 0x3f7ee86f, v48
	v_pk_add_f32 v[48:49], v[30:31], v[68:69] neg_lo:[0,1] neg_hi:[0,1]
	v_pk_add_f32 v[30:31], v[30:31], v[68:69]
	v_mul_f32_e32 v108, 0x3f3d2fb0, v61
	v_mul_f32_e32 v110, 0x3f2c7751, v65
	v_pk_add_f32 v[20:21], v[50:51], v[20:21]
	v_mov_b32_e32 v49, v30
	v_pk_add_f32 v[30:31], v[62:63], v[66:67] neg_lo:[0,1] neg_hi:[0,1]
	v_pk_add_f32 v[50:51], v[62:63], v[66:67]
	v_mul_f32_e32 v60, 0xbf1a4643, v60
	v_mul_f32_e32 v64, 0xbf4c4adb, v64
	v_mov_b32_e32 v31, v50
	v_pk_add_f32 v[50:51], v[108:109], v[110:111] neg_lo:[0,1] neg_hi:[0,1]
	v_pk_add_f32 v[54:55], v[108:109], v[110:111]
	v_mul_f32_e32 v114, 0x3ee437d1, v73
	v_mul_f32_e32 v96, 0x3f65296c, v75
	v_mov_b32_e32 v51, v54
	v_pk_add_f32 v[54:55], v[60:61], v[64:65] neg_lo:[0,1] neg_hi:[0,1]
	v_pk_add_f32 v[56:57], v[60:61], v[64:65]
	v_mul_f32_e32 v138, 0xbf7ba420, v69
	v_mov_b32_e32 v55, v56
	v_pk_add_f32 v[56:57], v[114:115], v[96:97] neg_lo:[0,1] neg_hi:[0,1]
	v_pk_add_f32 v[58:59], v[114:115], v[96:97]
	;; [unrolled: 4-line block ×3, first 2 shown]
	v_mul_f32_e32 v74, 0xbf763a35, v74
	v_mov_b32_e32 v59, v0
	v_pk_add_f32 v[0:1], v[98:99], v[58:59]
	v_pk_fma_f32 v[88:89], v[116:117], s[0:1], v[84:85] neg_lo:[0,0,1] neg_hi:[0,0,1]
	v_pk_add_f32 v[0:1], v[0:1], v[48:49]
	v_pk_add_f32 v[48:49], v[72:73], v[74:75]
	;; [unrolled: 1-line block ×3, first 2 shown]
	v_pk_add_f32 v[30:31], v[72:73], v[74:75] neg_lo:[0,1] neg_hi:[0,1]
	v_pk_add_f32 v[0:1], v[50:51], v[0:1]
	v_mov_b32_e32 v31, v48
	v_pk_add_f32 v[0:1], v[54:55], v[0:1]
	v_lshl_add_u32 v23, v6, 6, v7
	v_pk_add_f32 v[0:1], v[56:57], v[0:1]
	v_pk_add_f32 v[78:79], v[88:89], v[78:79]
	;; [unrolled: 1-line block ×3, first 2 shown]
	v_pk_add_f32 v[30:31], v[44:45], v[46:47] neg_lo:[0,1] neg_hi:[0,1]
	v_pk_add_f32 v[46:47], v[44:45], v[46:47]
	s_nop 0
	v_mov_b32_e32 v31, v46
	v_pk_add_f32 v[0:1], v[30:31], v[0:1]
	ds_write2_b32 v23, v28, v29 offset1:1
	ds_write2_b32 v23, v52, v53 offset0:2 offset1:3
	ds_write2_b32 v23, v2, v3 offset0:4 offset1:5
	;; [unrolled: 1-line block ×5, first 2 shown]
	ds_write_b32 v23, v19 offset:48
	ds_write2_b32 v23, v16, v17 offset0:13 offset1:14
	ds_write2_b32 v23, v14, v15 offset0:15 offset1:16
.LBB0_15:
	s_or_b64 exec, exec, s[26:27]
	s_movk_i32 s0, 0xf1
	v_mul_lo_u16_sdwa v0, v6, s0 dst_sel:DWORD dst_unused:UNUSED_PAD src0_sel:BYTE_0 src1_sel:DWORD
	v_lshrrev_b16_e32 v15, 12, v0
	v_mul_lo_u16_e32 v0, 17, v15
	v_sub_u16_e32 v88, v6, v0
	v_mov_b32_e32 v0, 12
	v_mul_u32_u24_sdwa v0, v88, v0 dst_sel:DWORD dst_unused:UNUSED_PAD src0_sel:BYTE_0 src1_sel:DWORD
	v_lshlrev_b32_e32 v25, 3, v0
	s_load_dwordx2 s[6:7], s[6:7], 0x0
	s_waitcnt lgkmcnt(0)
	s_barrier
	global_load_dwordx4 v[0:3], v25, s[4:5] offset:48
	global_load_dwordx4 v[52:55], v25, s[4:5] offset:64
	;; [unrolled: 1-line block ×3, first 2 shown]
	global_load_dwordx4 v[28:31], v25, s[4:5]
	global_load_dwordx4 v[46:49], v25, s[4:5] offset:16
	ds_read2_b32 v[20:21], v7 offset1:136
	ds_read2_b32 v[60:61], v12 offset0:16 offset1:152
	ds_read2_b32 v[18:19], v18 offset0:32 offset1:168
	;; [unrolled: 1-line block ×5, first 2 shown]
	ds_read_b32 v23, v7 offset:6528
	global_load_dwordx4 v[24:27], v25, s[4:5] offset:32
	v_mov_b32_e32 v22, v41
	s_waitcnt lgkmcnt(5)
	v_mov_b32_e32 v72, v60
	v_mov_b32_e32 v73, v21
	;; [unrolled: 1-line block ×5, first 2 shown]
	s_waitcnt lgkmcnt(1)
	v_mov_b32_e32 v44, v67
	v_mov_b32_e32 v60, v18
	s_mov_b32 s0, 0x3f116cb1
	s_mov_b32 s13, 0xbeedf032
	;; [unrolled: 1-line block ×4, first 2 shown]
	v_mov_b32_e32 v71, v66
	v_mov_b32_e32 v69, v40
	;; [unrolled: 1-line block ×4, first 2 shown]
	s_mov_b32 s2, 0xbf788fa5
	s_mov_b32 s16, 0xbeb58ec6
	;; [unrolled: 1-line block ×15, first 2 shown]
	v_mul_u32_u24_e32 v15, 0x374, v15
	s_waitcnt lgkmcnt(0)
	s_barrier
	s_waitcnt vmcnt(5)
	v_mov_b32_e32 v74, v1
	s_waitcnt vmcnt(4)
	v_mov_b32_e32 v77, v54
	;; [unrolled: 2-line block ×4, first 2 shown]
	v_mov_b32_e32 v81, v28
	v_mov_b32_e32 v28, v31
	;; [unrolled: 1-line block ×8, first 2 shown]
	s_waitcnt vmcnt(1)
	v_mov_b32_e32 v56, v48
	v_mov_b32_e32 v57, v46
	;; [unrolled: 1-line block ×3, first 2 shown]
	v_pk_mul_f32 v[48:49], v[72:73], v[28:29]
	v_pk_mul_f32 v[30:31], v[22:23], v[30:31]
	;; [unrolled: 1-line block ×5, first 2 shown]
	v_pk_fma_f32 v[46:47], v[50:51], v[80:81], v[48:49]
	v_pk_fma_f32 v[50:51], v[44:45], v[78:79], v[30:31]
	v_mov_b32_e32 v44, v41
	v_mov_b32_e32 v22, v67
	v_pk_fma_f32 v[48:49], v[72:73], v[80:81], v[28:29] neg_lo:[0,0,1] neg_hi:[0,0,1]
	v_pk_mul_f32 v[28:29], v[44:45], v[58:59]
	v_pk_fma_f32 v[30:31], v[42:43], v[56:57], v[84:85]
	v_pk_fma_f32 v[22:23], v[22:23], v[82:83], v[28:29] neg_lo:[0,0,1] neg_hi:[0,0,1]
	v_pk_fma_f32 v[42:43], v[60:61], v[56:57], v[86:87] neg_lo:[0,0,1] neg_hi:[0,0,1]
	v_pk_add_f32 v[28:29], v[48:49], v[22:23] neg_lo:[0,1] neg_hi:[0,1]
	v_pk_add_f32 v[56:57], v[46:47], v[50:51]
	v_pk_mul_f32 v[44:45], v[28:29], s[12:13]
	v_mov_b32_e32 v61, v54
	v_pk_fma_f32 v[58:59], v[56:57], s[0:1], v[44:45]
	v_pk_fma_f32 v[44:45], v[56:57], s[0:1], v[44:45] neg_lo:[0,0,1] neg_hi:[0,0,1]
	v_add_f32_e32 v41, v32, v59
	v_add_f32_e32 v45, v32, v45
	v_mov_b32_e32 v59, v66
	v_mov_b32_e32 v66, v37
	;; [unrolled: 1-line block ×4, first 2 shown]
	v_add_f32_e32 v72, v58, v41
	v_add_f32_e32 v73, v44, v45
	v_mov_b32_e32 v44, v52
	v_mov_b32_e32 v45, v55
	;; [unrolled: 1-line block ×4, first 2 shown]
	v_pk_mul_f32 v[40:41], v[66:67], v[54:55]
	v_mov_b32_e32 v76, v53
	v_mul_f32_e32 v18, 0xbe750f2a, v29
	v_pk_mul_f32 v[44:45], v[70:71], v[44:45]
	v_pk_fma_f32 v[40:41], v[58:59], v[60:61], v[40:41] neg_lo:[0,0,1] neg_hi:[0,0,1]
	v_mul_f32_e32 v21, 0x3eedf032, v28
	v_fmamk_f32 v33, v57, 0xbf788fa5, v18
	v_pk_fma_f32 v[44:45], v[68:69], v[76:77], v[44:45]
	v_pk_add_f32 v[60:61], v[42:43], v[40:41] neg_lo:[0,1] neg_hi:[0,1]
	v_fma_f32 v18, v57, s2, -v18
	v_fmamk_f32 v38, v56, 0x3f62ad3f, v21
	v_add_f32_e32 v33, v32, v33
	v_pk_add_f32 v[58:59], v[30:31], v[44:45]
	v_pk_mul_f32 v[52:53], v[60:61], s[18:19]
	v_fma_f32 v21, v56, s1, -v21
	v_add_f32_e32 v18, v32, v18
	v_add_f32_e32 v33, v38, v33
	v_pk_fma_f32 v[54:55], v[58:59], s[16:17], v[52:53]
	v_pk_fma_f32 v[52:53], v[58:59], s[16:17], v[52:53] neg_lo:[0,0,1] neg_hi:[0,0,1]
	v_mul_f32_e32 v38, 0xbf29c268, v61
	v_add_f32_e32 v18, v21, v18
	v_add_f32_e32 v37, v53, v73
	v_fmamk_f32 v53, v59, 0xbf3f9e67, v38
	v_fma_f32 v38, v59, s3, -v38
	v_add_f32_e32 v18, v38, v18
	v_mul_f32_e32 v38, 0x3f52af12, v60
	v_add_f32_e32 v37, v52, v37
	v_fmamk_f32 v52, v58, 0x3f116cb1, v38
	v_fma_f32 v38, v58, s0, -v38
	v_add_f32_e32 v21, v55, v72
	v_add_f32_e32 v65, v38, v18
	v_mov_b32_e32 v38, v34
	s_waitcnt vmcnt(0)
	v_mov_b32_e32 v55, v24
	v_mov_b32_e32 v18, v62
	v_mov_b32_e32 v24, v27
	v_add_f32_e32 v33, v53, v33
	v_add_f32_e32 v21, v54, v21
	v_mov_b32_e32 v54, v26
	v_pk_mul_f32 v[26:27], v[18:19], v[24:25]
	v_pk_mul_f32 v[24:25], v[38:39], v[24:25]
	v_add_f32_e32 v12, v32, v47
	v_add_f32_e32 v33, v52, v33
	v_pk_fma_f32 v[52:53], v[38:39], v[54:55], v[26:27]
	v_pk_fma_f32 v[38:39], v[18:19], v[54:55], v[24:25] neg_lo:[0,0,1] neg_hi:[0,0,1]
	v_mov_b32_e32 v24, v35
	v_mov_b32_e32 v25, v64
	v_mov_b32_e32 v26, v0
	v_mov_b32_e32 v27, v3
	v_mov_b32_e32 v75, v2
	v_add_f32_e32 v12, v12, v46
	v_mov_b32_e32 v18, v63
	v_mov_b32_e32 v19, v36
	v_pk_mul_f32 v[24:25], v[24:25], v[26:27]
	v_add_f32_e32 v12, v12, v31
	v_pk_fma_f32 v[54:55], v[18:19], v[74:75], v[24:25]
	v_mov_b32_e32 v25, v2
	v_mov_b32_e32 v26, v35
	;; [unrolled: 1-line block ×4, first 2 shown]
	v_add_f32_e32 v12, v12, v30
	v_mov_b32_e32 v19, v64
	v_mov_b32_e32 v24, v0
	v_pk_mul_f32 v[0:1], v[26:27], v[2:3]
	s_mov_b32 s13, 0x3f7e222b
	v_pk_fma_f32 v[34:35], v[18:19], v[24:25], v[0:1] neg_lo:[0,0,1] neg_hi:[0,0,1]
	v_add_f32_e32 v0, v12, v53
	v_add_f32_e32 v0, v0, v52
	;; [unrolled: 1-line block ×7, first 2 shown]
	v_pk_add_f32 v[26:27], v[38:39], v[34:35] neg_lo:[0,1] neg_hi:[0,1]
	v_add_f32_e32 v12, v0, v51
	v_pk_add_f32 v[24:25], v[52:53], v[54:55]
	v_pk_mul_f32 v[0:1], v[26:27], s[14:15]
	v_mul_f32_e32 v18, 0xbf6f5d39, v27
	v_pk_fma_f32 v[2:3], v[24:25], s[2:3], v[0:1]
	v_pk_fma_f32 v[0:1], v[24:25], s[2:3], v[0:1] neg_lo:[0,0,1] neg_hi:[0,0,1]
	v_add_f32_e32 v3, v3, v21
	v_fmamk_f32 v19, v25, 0xbeb58ec6, v18
	v_fma_f32 v18, v25, s16, -v18
	v_add_f32_e32 v63, v2, v3
	v_pk_mul_f32 v[2:3], v[28:29], s[22:23] op_sel:[1,0]
	v_add_f32_e32 v1, v1, v37
	v_add_f32_e32 v21, v19, v33
	;; [unrolled: 1-line block ×3, first 2 shown]
	v_pk_fma_f32 v[18:19], v[56:57], s[20:21], v[2:3] op_sel:[1,0,0]
	s_mov_b32 s22, s14
	s_mov_b32 s23, s18
	v_add_f32_e32 v0, v0, v1
	v_add_f32_e32 v1, v32, v19
	;; [unrolled: 1-line block ×3, first 2 shown]
	v_pk_fma_f32 v[2:3], v[56:57], s[20:21], v[2:3] op_sel:[1,0,0] neg_lo:[0,0,1] neg_hi:[0,0,1]
	s_mov_b32 s20, s2
	s_mov_b32 s21, s16
	v_pk_mul_f32 v[18:19], v[28:29], s[22:23] op_sel_hi:[0,1]
	v_pk_add_f32 v[2:3], v[32:33], v[2:3] op_sel_hi:[0,1]
	v_pk_fma_f32 v[36:37], v[56:57], s[20:21], v[18:19] op_sel_hi:[0,1,1]
	v_pk_fma_f32 v[18:19], v[56:57], s[20:21], v[18:19] op_sel_hi:[0,1,1] neg_lo:[0,0,1] neg_hi:[0,0,1]
	s_mov_b32 s22, 0x3f6f5d39
	s_mov_b32 s23, s14
	v_pk_add_f32 v[2:3], v[18:19], v[2:3]
	s_mov_b32 s20, s16
	s_mov_b32 s21, s2
	v_pk_mul_f32 v[18:19], v[60:61], s[22:23] op_sel:[1,0]
	v_add_f32_e32 v1, v37, v1
	v_add_f32_e32 v33, v36, v33
	v_pk_fma_f32 v[36:37], v[58:59], s[20:21], v[18:19] op_sel:[1,0,0]
	v_pk_fma_f32 v[18:19], v[58:59], s[20:21], v[18:19] op_sel:[1,0,0] neg_lo:[0,0,1] neg_hi:[0,0,1]
	s_mov_b32 s20, s1
	v_pk_add_f32 v[2:3], v[18:19], v[2:3]
	s_mov_b32 s21, s3
	v_pk_mul_f32 v[18:19], v[60:61], s[8:9] op_sel_hi:[0,1]
	v_add_f32_e32 v1, v37, v1
	v_add_f32_e32 v33, v36, v33
	v_pk_fma_f32 v[36:37], v[58:59], s[20:21], v[18:19] op_sel_hi:[0,1,1]
	v_pk_fma_f32 v[18:19], v[58:59], s[20:21], v[18:19] op_sel_hi:[0,1,1] neg_lo:[0,0,1] neg_hi:[0,0,1]
	v_pk_add_f32 v[2:3], v[18:19], v[2:3]
	s_mov_b32 s20, s0
	s_mov_b32 s21, s17
	v_pk_mul_f32 v[18:19], v[26:27], s[12:13] op_sel:[1,0]
	v_add_f32_e32 v1, v37, v1
	v_add_f32_e32 v33, v36, v33
	v_pk_fma_f32 v[36:37], v[24:25], s[20:21], v[18:19] op_sel:[1,0,0]
	v_pk_fma_f32 v[18:19], v[24:25], s[20:21], v[18:19] op_sel:[1,0,0] neg_lo:[0,0,1] neg_hi:[0,0,1]
	s_mov_b32 s22, s15
	s_mov_b32 s23, s8
	v_pk_add_f32 v[2:3], v[18:19], v[2:3]
	s_mov_b32 s20, s3
	s_mov_b32 s21, s1
	v_pk_mul_f32 v[18:19], v[26:27], s[22:23] op_sel_hi:[0,1]
	v_add_f32_e32 v1, v37, v1
	v_add_f32_e32 v33, v36, v33
	v_pk_fma_f32 v[36:37], v[24:25], s[20:21], v[18:19] op_sel_hi:[0,1,1]
	v_pk_fma_f32 v[18:19], v[24:25], s[20:21], v[18:19] op_sel_hi:[0,1,1] neg_lo:[0,0,1] neg_hi:[0,0,1]
	s_mov_b32 s14, s15
	s_mov_b32 s15, s18
	v_pk_add_f32 v[2:3], v[18:19], v[2:3]
	s_mov_b32 s21, s16
	v_pk_mul_f32 v[18:19], v[28:29], s[14:15] op_sel:[1,0]
	v_add_f32_e32 v1, v37, v1
	v_add_f32_e32 v64, v36, v33
	v_pk_fma_f32 v[36:37], v[56:57], s[20:21], v[18:19] op_sel:[1,0,0]
	v_pk_fma_f32 v[18:19], v[56:57], s[20:21], v[18:19] op_sel:[1,0,0] neg_lo:[0,0,1] neg_hi:[0,0,1]
	s_mov_b32 s20, s13
	s_mov_b32 s21, s9
	;; [unrolled: 1-line block ×4, first 2 shown]
	v_pk_mul_f32 v[28:29], v[28:29], s[20:21] op_sel_hi:[0,1]
	v_add_f32_e32 v37, v32, v37
	v_add_f32_e32 v36, v32, v36
	v_pk_add_f32 v[18:19], v[32:33], v[18:19] op_sel_hi:[0,1]
	v_pk_fma_f32 v[32:33], v[56:57], s[14:15], v[28:29] op_sel_hi:[0,1,1]
	v_pk_fma_f32 v[28:29], v[56:57], s[14:15], v[28:29] op_sel_hi:[0,1,1] neg_lo:[0,0,1] neg_hi:[0,0,1]
	s_mov_b32 s13, s8
	v_pk_add_f32 v[18:19], v[28:29], v[18:19]
	v_pk_mul_f32 v[28:29], v[60:61], s[12:13] op_sel:[1,0]
	v_add_f32_e32 v37, v33, v37
	v_add_f32_e32 v36, v32, v36
	v_pk_fma_f32 v[32:33], v[58:59], s[0:1], v[28:29] op_sel:[1,0,0]
	v_pk_fma_f32 v[28:29], v[58:59], s[0:1], v[28:29] op_sel:[1,0,0] neg_lo:[0,0,1] neg_hi:[0,0,1]
	s_mov_b32 s12, 0x3e750f2a
	s_mov_b32 s13, s19
	v_pk_add_f32 v[18:19], v[28:29], v[18:19]
	s_mov_b32 s3, s17
	v_pk_mul_f32 v[28:29], v[60:61], s[12:13] op_sel_hi:[0,1]
	v_add_f32_e32 v37, v33, v37
	v_add_f32_e32 v36, v32, v36
	v_pk_fma_f32 v[32:33], v[58:59], s[2:3], v[28:29] op_sel_hi:[0,1,1]
	v_pk_fma_f32 v[28:29], v[58:59], s[2:3], v[28:29] op_sel_hi:[0,1,1] neg_lo:[0,0,1] neg_hi:[0,0,1]
	s_mov_b32 s9, s12
	v_pk_add_f32 v[18:19], v[28:29], v[18:19]
	s_mov_b32 s14, s1
	s_mov_b32 s15, s2
	v_pk_mul_f32 v[28:29], v[26:27], s[8:9] op_sel:[1,0]
	v_add_f32_e32 v37, v33, v37
	v_add_f32_e32 v36, v32, v36
	v_pk_fma_f32 v[32:33], v[24:25], s[14:15], v[28:29] op_sel:[1,0,0]
	v_pk_fma_f32 v[28:29], v[24:25], s[14:15], v[28:29] op_sel:[1,0,0] neg_lo:[0,0,1] neg_hi:[0,0,1]
	s_mov_b32 s19, s24
	v_pk_add_f32 v[18:19], v[28:29], v[18:19]
	s_mov_b32 s2, s16
	s_mov_b32 s3, s0
	v_pk_mul_f32 v[28:29], v[26:27], s[18:19] op_sel_hi:[0,1]
	v_add_f32_e32 v37, v33, v37
	v_add_f32_e32 v36, v32, v36
	v_pk_fma_f32 v[32:33], v[24:25], s[2:3], v[28:29] op_sel_hi:[0,1,1]
	v_pk_fma_f32 v[28:29], v[24:25], s[2:3], v[28:29] op_sel_hi:[0,1,1] neg_lo:[0,0,1] neg_hi:[0,0,1]
	v_mul_f32_e32 v25, 0x3f7e222b, v26
	v_fmamk_f32 v26, v24, 0x3df6dbef, v25
	v_fma_f32 v24, v24, s17, -v25
	v_mov_b32_e32 v25, 2
	v_lshlrev_b32_sdwa v25, v25, v88 dst_sel:DWORD dst_unused:UNUSED_PAD src0_sel:DWORD src1_sel:BYTE_0
	v_add3_u32 v15, 0, v15, v25
	v_add_f32_e32 v27, v33, v37
	v_add_f32_e32 v32, v32, v36
	v_pk_add_f32 v[18:19], v[28:29], v[18:19]
	v_add_f32_e32 v21, v26, v21
	v_add_f32_e32 v24, v24, v62
	ds_write2_b32 v15, v12, v63 offset1:17
	ds_write2_b32 v15, v1, v64 offset0:34 offset1:51
	ds_write2_b32 v15, v27, v32 offset0:68 offset1:85
	;; [unrolled: 1-line block ×5, first 2 shown]
	ds_write_b32 v15, v0 offset:816
	v_add_u32_e32 v1, 0x680, v7
	s_waitcnt lgkmcnt(0)
	s_barrier
	ds_read2_b32 v[24:25], v1 offset0:26 offset1:247
	v_add_u32_e32 v1, 0xd80, v7
	ds_read2_b32 v[26:27], v1 offset0:20 offset1:241
	v_add_u32_e32 v1, 0x1480, v7
	ds_read2_b32 v[32:33], v7 offset1:221
	ds_read2_b32 v[28:29], v1 offset0:14 offset1:235
	s_movk_i32 s0, 0x55
	s_movk_i32 s2, 0x54
	v_cmp_gt_u32_e64 s[0:1], s0, v6
	v_cmp_lt_u32_e64 s[2:3], s2, v6
	s_and_saveexec_b64 s[8:9], s[2:3]
	s_xor_b64 s[8:9], exec, s[8:9]
	s_andn2_saveexec_b64 s[8:9], s[8:9]
	s_cbranch_execz .LBB0_17
; %bb.16:
	v_add_u32_e32 v0, 0x200, v7
	ds_read2_b32 v[18:19], v0 offset0:8 offset1:229
	v_add_u32_e32 v0, 0xf80, v7
	v_add_u32_e32 v2, 0x900, v7
	ds_read2_b32 v[0:1], v0 offset0:28 offset1:249
	v_add_u32_e32 v3, 0x1680, v7
	ds_read2_b32 v[12:13], v3 offset0:22 offset1:243
	ds_read2_b32 v[2:3], v2 offset0:2 offset1:223
	s_waitcnt lgkmcnt(2)
	v_mov_b32_e32 v10, v1
	s_waitcnt lgkmcnt(1)
	v_mov_b32_e32 v11, v12
.LBB0_17:
	s_or_b64 exec, exec, s[8:9]
	v_add_f32_e32 v1, v20, v49
	v_add_f32_e32 v1, v1, v48
	v_pk_add_f32 v[36:37], v[48:49], v[22:23]
	v_add_f32_e32 v1, v1, v43
	v_pk_add_f32 v[46:47], v[46:47], v[50:51] neg_lo:[0,1] neg_hi:[0,1]
	v_mul_f32_e32 v12, 0x3f62ad3f, v37
	v_add_f32_e32 v1, v1, v42
	v_fmamk_f32 v21, v47, 0x3eedf032, v12
	v_fmac_f32_e32 v12, 0xbeedf032, v47
	v_mul_f32_e32 v50, 0x3f116cb1, v36
	v_pk_add_f32 v[42:43], v[42:43], v[40:41]
	v_add_f32_e32 v1, v1, v39
	v_add_f32_e32 v12, v20, v12
	v_mul_f32_e32 v48, 0xbf788fa5, v37
	v_fmamk_f32 v51, v46, 0x3f52af12, v50
	v_fmac_f32_e32 v50, 0xbf52af12, v46
	v_pk_add_f32 v[44:45], v[30:31], v[44:45] neg_lo:[0,1] neg_hi:[0,1]
	v_mul_f32_e32 v30, 0x3df6dbef, v43
	v_add_f32_e32 v1, v1, v38
	v_add_f32_e32 v21, v20, v21
	v_fmamk_f32 v49, v47, 0x3e750f2a, v48
	v_fmac_f32_e32 v48, 0xbe750f2a, v47
	v_add_f32_e32 v12, v50, v12
	v_mul_f32_e32 v50, 0x3f62ad3f, v36
	v_fmamk_f32 v31, v45, 0x3f7e222b, v30
	v_fmac_f32_e32 v30, 0xbf7e222b, v45
	v_add_f32_e32 v1, v1, v34
	v_add_f32_e32 v48, v20, v48
	v_add_f32_e32 v21, v51, v21
	v_fmamk_f32 v51, v46, 0xbeedf032, v50
	v_fmac_f32_e32 v50, 0x3eedf032, v46
	v_add_f32_e32 v12, v30, v12
	v_mul_f32_e32 v30, 0xbf3f9e67, v43
	v_add_f32_e32 v1, v1, v35
	v_add_f32_e32 v49, v20, v49
	;; [unrolled: 1-line block ×4, first 2 shown]
	v_fmamk_f32 v31, v45, 0x3f29c268, v30
	v_fmac_f32_e32 v30, 0xbf29c268, v45
	v_add_f32_e32 v1, v1, v40
	v_add_f32_e32 v49, v51, v49
	;; [unrolled: 1-line block ×3, first 2 shown]
	v_mul_f32_e32 v48, 0xbeb58ec6, v42
	v_add_f32_e32 v1, v1, v41
	v_pk_add_f32 v[34:35], v[38:39], v[34:35]
	v_add_f32_e32 v31, v31, v49
	v_fmamk_f32 v49, v44, 0x3f6f5d39, v48
	v_fmac_f32_e32 v48, 0xbf6f5d39, v44
	v_add_f32_e32 v1, v1, v22
	v_pk_add_f32 v[38:39], v[52:53], v[54:55] neg_lo:[0,1] neg_hi:[0,1]
	v_mul_f32_e32 v22, 0xbf3f9e67, v35
	v_add_f32_e32 v12, v48, v12
	v_mul_f32_e32 v48, 0x3f116cb1, v42
	v_add_f32_e32 v1, v1, v23
	v_fmamk_f32 v23, v39, 0x3f29c268, v22
	v_fmac_f32_e32 v22, 0xbf29c268, v39
	v_add_f32_e32 v21, v49, v21
	v_fmamk_f32 v49, v44, 0xbf52af12, v48
	v_fmac_f32_e32 v48, 0x3f52af12, v44
	v_add_f32_e32 v12, v22, v12
	v_mul_f32_e32 v22, 0xbeb58ec6, v35
	v_add_f32_e32 v30, v48, v30
	v_add_f32_e32 v21, v23, v21
	v_fmamk_f32 v23, v39, 0x3f6f5d39, v22
	v_fmac_f32_e32 v22, 0xbf6f5d39, v39
	v_add_f32_e32 v50, v22, v30
	v_mul_f32_e32 v22, 0xbf788fa5, v34
	s_mov_b32 s23, 0x3f116cb1
	s_mov_b32 s24, 0xbf7e222b
	;; [unrolled: 1-line block ×3, first 2 shown]
	v_add_f32_e32 v31, v49, v31
	v_fmamk_f32 v30, v38, 0x3e750f2a, v22
	s_mov_b32 s12, 0xbf788fa5
	s_mov_b32 s25, 0xbf52af12
	v_add_f32_e32 v23, v23, v31
	v_add_f32_e32 v51, v30, v21
	v_pk_mul_f32 v[30:31], v[36:37], s[22:23] op_sel:[1,0]
	s_mov_b32 s13, 0xbeb58ec6
	s_mov_b32 s16, 0xbe750f2a
	v_fmac_f32_e32 v22, 0xbe750f2a, v38
	v_pk_fma_f32 v[40:41], v[46:47], s[24:25], v[30:31] op_sel:[1,0,0] neg_lo:[1,0,0] neg_hi:[1,0,0]
	s_mov_b32 s17, 0xbf6f5d39
	v_add_f32_e32 v22, v22, v12
	v_add_f32_e32 v12, v20, v41
	;; [unrolled: 1-line block ×3, first 2 shown]
	v_pk_fma_f32 v[30:31], v[46:47], s[24:25], v[30:31] op_sel:[1,0,0]
	v_pk_mul_f32 v[40:41], v[36:37], s[12:13] op_sel_hi:[0,1]
	v_pk_add_f32 v[30:31], v[20:21], v[30:31] op_sel_hi:[0,1]
	v_pk_fma_f32 v[48:49], v[46:47], s[16:17], v[40:41] op_sel_hi:[0,1,1] neg_lo:[1,0,0] neg_hi:[1,0,0]
	v_pk_fma_f32 v[40:41], v[46:47], s[16:17], v[40:41] op_sel_hi:[0,1,1]
	s_mov_b32 s34, s13
	s_mov_b32 s35, s12
	;; [unrolled: 1-line block ×3, first 2 shown]
	v_pk_add_f32 v[30:31], v[40:41], v[30:31]
	v_pk_mul_f32 v[40:41], v[42:43], s[34:35] op_sel:[1,0]
	s_mov_b32 s31, s16
	s_mov_b32 s14, 0x3f62ad3f
	;; [unrolled: 1-line block ×3, first 2 shown]
	v_add_f32_e32 v12, v49, v12
	v_add_f32_e32 v21, v48, v21
	v_pk_fma_f32 v[48:49], v[44:45], s[30:31], v[40:41] op_sel:[1,0,0] neg_lo:[1,0,0] neg_hi:[1,0,0]
	v_pk_fma_f32 v[40:41], v[44:45], s[30:31], v[40:41] op_sel:[1,0,0]
	s_mov_b32 s8, 0x3eedf032
	s_mov_b32 s9, 0x3f29c268
	v_pk_add_f32 v[30:31], v[40:41], v[30:31]
	v_pk_mul_f32 v[40:41], v[42:43], s[14:15] op_sel_hi:[0,1]
	v_add_f32_e32 v12, v49, v12
	v_add_f32_e32 v21, v48, v21
	v_pk_fma_f32 v[48:49], v[44:45], s[8:9], v[40:41] op_sel_hi:[0,1,1] neg_lo:[1,0,0] neg_hi:[1,0,0]
	v_pk_fma_f32 v[40:41], v[44:45], s[8:9], v[40:41] op_sel_hi:[0,1,1]
	s_mov_b32 s30, s23
	s_mov_b32 s31, s22
	;; [unrolled: 1-line block ×3, first 2 shown]
	v_pk_add_f32 v[30:31], v[40:41], v[30:31]
	v_pk_mul_f32 v[40:41], v[34:35], s[30:31] op_sel:[1,0]
	s_mov_b32 s26, s25
	v_add_f32_e32 v12, v49, v12
	v_add_f32_e32 v21, v48, v21
	v_pk_fma_f32 v[48:49], v[38:39], s[26:27], v[40:41] op_sel:[1,0,0] neg_lo:[1,0,0] neg_hi:[1,0,0]
	v_pk_fma_f32 v[40:41], v[38:39], s[26:27], v[40:41] op_sel:[1,0,0]
	s_mov_b32 s30, s15
	s_mov_b32 s31, s14
	s_mov_b32 s28, 0xbf29c268
	v_pk_add_f32 v[30:31], v[40:41], v[30:31]
	v_pk_mul_f32 v[40:41], v[34:35], s[30:31] op_sel_hi:[0,1]
	s_mov_b32 s29, s8
	v_add_f32_e32 v12, v49, v12
	v_add_f32_e32 v21, v48, v21
	v_pk_fma_f32 v[48:49], v[38:39], s[28:29], v[40:41] op_sel_hi:[0,1,1] neg_lo:[1,0,0] neg_hi:[1,0,0]
	v_pk_fma_f32 v[40:41], v[38:39], s[28:29], v[40:41] op_sel_hi:[0,1,1]
	s_mov_b32 s31, s13
	v_pk_add_f32 v[30:31], v[40:41], v[30:31]
	v_pk_mul_f32 v[40:41], v[36:37], s[30:31] op_sel:[1,0]
	s_mov_b32 s29, s17
	v_add_f32_e32 v12, v49, v12
	v_add_f32_e32 v52, v48, v21
	v_pk_fma_f32 v[48:49], v[46:47], s[28:29], v[40:41] op_sel:[1,0,0] neg_lo:[1,0,0] neg_hi:[1,0,0]
	v_pk_fma_f32 v[40:41], v[46:47], s[28:29], v[40:41] op_sel:[1,0,0]
	s_mov_b32 s28, s22
	s_mov_b32 s29, s15
	v_pk_mul_f32 v[36:37], v[36:37], s[28:29] op_sel_hi:[0,1]
	s_mov_b32 s26, s27
	s_mov_b32 s27, s9
	v_add_f32_e32 v49, v20, v49
	v_add_f32_e32 v48, v20, v48
	v_pk_add_f32 v[20:21], v[20:21], v[40:41] op_sel_hi:[0,1]
	v_pk_fma_f32 v[40:41], v[46:47], s[26:27], v[36:37] op_sel_hi:[0,1,1] neg_lo:[1,0,0] neg_hi:[1,0,0]
	v_pk_fma_f32 v[36:37], v[46:47], s[26:27], v[36:37] op_sel_hi:[0,1,1]
	s_mov_b32 s26, s23
	s_mov_b32 s27, s14
	v_pk_add_f32 v[20:21], v[36:37], v[20:21]
	v_pk_mul_f32 v[36:37], v[42:43], s[26:27] op_sel:[1,0]
	s_mov_b32 s26, s25
	s_mov_b32 s27, s8
	v_add_f32_e32 v49, v41, v49
	v_add_f32_e32 v48, v40, v48
	v_pk_fma_f32 v[40:41], v[44:45], s[26:27], v[36:37] op_sel:[1,0,0] neg_lo:[1,0,0] neg_hi:[1,0,0]
	v_pk_fma_f32 v[36:37], v[44:45], s[26:27], v[36:37] op_sel:[1,0,0]
	s_mov_b32 s26, s12
	s_mov_b32 s27, s22
	;; [unrolled: 1-line block ×3, first 2 shown]
	v_pk_add_f32 v[20:21], v[36:37], v[20:21]
	v_pk_mul_f32 v[36:37], v[42:43], s[26:27] op_sel_hi:[0,1]
	s_mov_b32 s21, s24
	v_add_f32_e32 v46, v41, v49
	v_add_f32_e32 v47, v40, v48
	v_pk_fma_f32 v[40:41], v[44:45], s[20:21], v[36:37] op_sel_hi:[0,1,1] neg_lo:[1,0,0] neg_hi:[1,0,0]
	v_pk_fma_f32 v[36:37], v[44:45], s[20:21], v[36:37] op_sel_hi:[0,1,1]
	s_mov_b32 s15, s12
	v_pk_add_f32 v[20:21], v[36:37], v[20:21]
	v_pk_mul_f32 v[36:37], v[34:35], s[14:15] op_sel:[1,0]
	s_mov_b32 s9, s20
	v_add_f32_e32 v42, v41, v46
	v_add_f32_e32 v43, v40, v47
	v_pk_fma_f32 v[40:41], v[38:39], s[8:9], v[36:37] op_sel:[1,0,0] neg_lo:[1,0,0] neg_hi:[1,0,0]
	v_pk_fma_f32 v[36:37], v[38:39], s[8:9], v[36:37] op_sel:[1,0,0]
	s_mov_b32 s22, s13
	s_mov_b32 s19, 0x3f52af12
	v_pk_add_f32 v[20:21], v[36:37], v[20:21]
	v_pk_mul_f32 v[36:37], v[34:35], s[22:23] op_sel_hi:[0,1]
	s_mov_b32 s18, s17
	v_add_f32_e32 v42, v41, v42
	v_add_f32_e32 v43, v40, v43
	v_pk_fma_f32 v[40:41], v[38:39], s[18:19], v[36:37] op_sel_hi:[0,1,1] neg_lo:[1,0,0] neg_hi:[1,0,0]
	v_pk_fma_f32 v[36:37], v[38:39], s[18:19], v[36:37] op_sel_hi:[0,1,1]
	v_mul_f32_e32 v34, 0x3df6dbef, v34
	v_pk_add_f32 v[20:21], v[36:37], v[20:21]
	v_fmamk_f32 v36, v38, 0xbf7e222b, v34
	v_fmac_f32_e32 v34, 0x3f7e222b, v38
	v_add_f32_e32 v35, v41, v42
	v_add_f32_e32 v39, v40, v43
	;; [unrolled: 1-line block ×4, first 2 shown]
	s_waitcnt lgkmcnt(0)
	s_barrier
	ds_write2_b32 v15, v1, v51 offset1:17
	ds_write2_b32 v15, v12, v52 offset0:34 offset1:51
	ds_write2_b32 v15, v35, v39 offset0:68 offset1:85
	;; [unrolled: 1-line block ×5, first 2 shown]
	ds_write_b32 v15, v22 offset:816
	v_add_u32_e32 v1, 0x680, v7
	s_waitcnt lgkmcnt(0)
	s_barrier
	ds_read2_b32 v[34:35], v1 offset0:26 offset1:247
	v_add_u32_e32 v1, 0xd80, v7
	ds_read2_b32 v[36:37], v1 offset0:20 offset1:241
	v_add_u32_e32 v1, 0x1480, v7
	ds_read2_b32 v[40:41], v7 offset1:221
	ds_read2_b32 v[38:39], v1 offset0:14 offset1:235
	s_and_saveexec_b64 s[8:9], s[2:3]
	s_xor_b64 s[2:3], exec, s[8:9]
	s_cbranch_execnz .LBB0_21
; %bb.18:
	s_andn2_saveexec_b64 s[2:3], s[2:3]
	s_cbranch_execnz .LBB0_22
.LBB0_19:
	s_or_b64 exec, exec, s[2:3]
	s_and_saveexec_b64 s[2:3], vcc
	s_cbranch_execnz .LBB0_23
.LBB0_20:
	s_endpgm
.LBB0_21:
                                        ; implicit-def: $vgpr7
	s_andn2_saveexec_b64 s[2:3], s[2:3]
	s_cbranch_execz .LBB0_19
.LBB0_22:
	v_add_u32_e32 v1, 0x200, v7
	ds_read2_b32 v[20:21], v1 offset0:8 offset1:229
	v_add_u32_e32 v1, 0xf80, v7
	ds_read2_b32 v[22:23], v1 offset0:28 offset1:249
	;; [unrolled: 2-line block ×4, first 2 shown]
	s_waitcnt lgkmcnt(2)
	v_mov_b32_e32 v16, v23
	s_waitcnt lgkmcnt(1)
	v_mov_b32_e32 v17, v14
	v_mov_b32_e32 v14, v15
	s_or_b64 exec, exec, s[2:3]
	s_and_saveexec_b64 s[2:3], vcc
	s_cbranch_execz .LBB0_20
.LBB0_23:
	v_mul_u32_u24_e32 v1, 7, v6
	v_lshlrev_b32_e32 v1, 3, v1
	global_load_dwordx4 v[42:45], v1, s[4:5] offset:1632
	global_load_dwordx4 v[46:49], v1, s[4:5] offset:1664
	;; [unrolled: 1-line block ×3, first 2 shown]
	global_load_dwordx2 v[54:55], v1, s[4:5] offset:1680
	v_mul_lo_u32 v1, s7, v8
	v_mul_lo_u32 v15, s6, v9
	v_mad_u64_u32 v[8:9], s[2:3], s6, v8, 0
	v_add3_u32 v9, v9, v15, v1
	s_waitcnt lgkmcnt(3)
	v_mov_b32_e32 v12, v35
	s_waitcnt lgkmcnt(0)
	v_mov_b32_e32 v58, v39
	v_mov_b32_e32 v64, v41
	;; [unrolled: 1-line block ×3, first 2 shown]
	v_lshl_add_u64 v[8:9], v[8:9], 3, s[10:11]
	v_mov_b32_e32 v56, v32
	v_mov_b32_e32 v57, v40
	v_mov_b32_e32 v32, v25
	v_mov_b32_e32 v40, v25
	v_mov_b32_e32 v60, v29
	v_mov_b32_e32 v62, v29
	v_mov_b32_e32 v66, v33
	v_mov_b32_e32 v68, v33
	v_mov_b32_e32 v72, v27
	v_mov_b32_e32 v74, v27
	v_lshl_add_u64 v[4:5], v[4:5], 3, v[8:9]
	s_mov_b32 s2, 0x3f3504f3
	v_mov_b32_e32 v7, 0
	v_lshl_add_u64 v[4:5], v[6:7], 3, v[4:5]
	s_waitcnt vmcnt(3)
	v_pk_mul_f32 v[8:9], v[34:35], v[44:45] op_sel_hi:[0,1]
	s_waitcnt vmcnt(2)
	v_pk_mul_f32 v[34:35], v[38:39], v[48:49] op_sel_hi:[0,1]
	;; [unrolled: 2-line block ×3, first 2 shown]
	v_pk_mul_f32 v[38:39], v[12:13], v[50:51] op_sel_hi:[0,1]
	s_waitcnt vmcnt(0)
	v_pk_mul_f32 v[58:59], v[58:59], v[54:55] op_sel_hi:[0,1]
	v_pk_mul_f32 v[64:65], v[64:65], v[42:43] op_sel_hi:[0,1]
	;; [unrolled: 1-line block ×3, first 2 shown]
	v_pk_fma_f32 v[76:77], v[24:25], v[44:45], v[8:9] op_sel:[0,0,1] op_sel_hi:[1,1,0]
	v_pk_fma_f32 v[8:9], v[24:25], v[44:45], v[8:9] op_sel:[0,0,1] op_sel_hi:[0,1,0] neg_lo:[1,0,0] neg_hi:[1,0,0]
	v_pk_fma_f32 v[24:25], v[28:29], v[48:49], v[34:35] op_sel:[0,0,1] op_sel_hi:[1,1,0]
	v_pk_fma_f32 v[28:29], v[28:29], v[48:49], v[34:35] op_sel:[0,0,1] op_sel_hi:[0,1,0] neg_lo:[1,0,0] neg_hi:[1,0,0]
	;; [unrolled: 2-line block ×7, first 2 shown]
	v_mov_b32_e32 v77, v9
	v_mov_b32_e32 v25, v29
	;; [unrolled: 1-line block ×7, first 2 shown]
	v_pk_add_f32 v[8:9], v[76:77], v[24:25] neg_lo:[0,1] neg_hi:[0,1]
	v_pk_add_f32 v[24:25], v[56:57], v[34:35] neg_lo:[0,1] neg_hi:[0,1]
	;; [unrolled: 1-line block ×4, first 2 shown]
	v_pk_fma_f32 v[36:37], v[76:77], 2.0, v[8:9] op_sel_hi:[1,0,1] neg_lo:[0,0,1] neg_hi:[0,0,1]
	v_pk_fma_f32 v[32:33], v[32:33], 2.0, v[26:27] op_sel_hi:[1,0,1] neg_lo:[0,0,1] neg_hi:[0,0,1]
	v_pk_add_f32 v[40:41], v[24:25], v[8:9] op_sel:[0,1] op_sel_hi:[1,0]
	v_pk_add_f32 v[8:9], v[24:25], v[8:9] op_sel:[0,1] op_sel_hi:[1,0] neg_lo:[0,1] neg_hi:[0,1]
	v_pk_add_f32 v[42:43], v[28:29], v[26:27] op_sel:[0,1] op_sel_hi:[1,0]
	v_pk_add_f32 v[26:27], v[28:29], v[26:27] op_sel:[0,1] op_sel_hi:[1,0] neg_lo:[0,1] neg_hi:[0,1]
	v_pk_fma_f32 v[34:35], v[56:57], 2.0, v[24:25] op_sel_hi:[1,0,1] neg_lo:[0,0,1] neg_hi:[0,0,1]
	v_pk_fma_f32 v[38:39], v[44:45], 2.0, v[28:29] op_sel_hi:[1,0,1] neg_lo:[0,0,1] neg_hi:[0,0,1]
	v_mov_b32_e32 v41, v9
	v_mov_b32_e32 v43, v27
	v_pk_add_f32 v[36:37], v[34:35], v[36:37] neg_lo:[0,1] neg_hi:[0,1]
	v_pk_add_f32 v[32:33], v[38:39], v[32:33] neg_lo:[0,1] neg_hi:[0,1]
	v_pk_fma_f32 v[28:29], v[28:29], 2.0, v[42:43] op_sel_hi:[1,0,1] neg_lo:[0,0,1] neg_hi:[0,0,1]
	v_pk_fma_f32 v[24:25], v[24:25], 2.0, v[40:41] op_sel_hi:[1,0,1] neg_lo:[0,0,1] neg_hi:[0,0,1]
	;; [unrolled: 1-line block ×4, first 2 shown]
	v_pk_add_f32 v[34:35], v[36:37], v[32:33] op_sel:[0,1] op_sel_hi:[1,0]
	v_pk_add_f32 v[32:33], v[36:37], v[32:33] op_sel:[0,1] op_sel_hi:[1,0] neg_lo:[0,1] neg_hi:[0,1]
	v_pk_mul_f32 v[44:45], v[28:29], s[2:3] op_sel_hi:[1,0]
	v_pk_fma_f32 v[28:29], v[28:29], s[2:3], v[24:25] op_sel_hi:[1,0,1] neg_lo:[1,0,0] neg_hi:[1,0,0]
	v_pk_add_f32 v[26:27], v[8:9], v[26:27] neg_lo:[0,1] neg_hi:[0,1]
	v_mov_b32_e32 v35, v33
	v_pk_add_f32 v[32:33], v[28:29], v[44:45] op_sel:[0,1] op_sel_hi:[1,0]
	v_pk_add_f32 v[28:29], v[28:29], v[44:45] op_sel:[0,1] op_sel_hi:[1,0] neg_lo:[0,1] neg_hi:[0,1]
	v_pk_fma_f32 v[8:9], v[8:9], 2.0, v[26:27] op_sel_hi:[1,0,1] neg_lo:[0,0,1] neg_hi:[0,0,1]
	v_mov_b32_e32 v33, v29
	global_store_dwordx2 v[4:5], v[8:9], off
	v_pk_fma_f32 v[8:9], v[24:25], 2.0, v[32:33] op_sel_hi:[1,0,1] neg_lo:[0,0,1] neg_hi:[0,0,1]
	v_pk_mul_f32 v[38:39], v[42:43], s[2:3] op_sel_hi:[1,0]
	global_store_dwordx2 v[4:5], v[8:9], off offset:1768
	v_pk_fma_f32 v[8:9], v[42:43], s[2:3], v[40:41] op_sel_hi:[1,0,1]
	s_movk_i32 s3, 0x1000
	v_pk_add_f32 v[24:25], v[8:9], v[38:39] op_sel:[0,1] op_sel_hi:[1,0]
	v_pk_add_f32 v[8:9], v[8:9], v[38:39] op_sel:[0,1] op_sel_hi:[1,0] neg_lo:[0,1] neg_hi:[0,1]
	v_pk_fma_f32 v[36:37], v[36:37], 2.0, v[34:35] op_sel_hi:[1,0,1] neg_lo:[0,0,1] neg_hi:[0,0,1]
	v_mov_b32_e32 v25, v9
	v_add_co_u32_e32 v8, vcc, s3, v4
	v_pk_fma_f32 v[28:29], v[40:41], 2.0, v[24:25] op_sel_hi:[1,0,1] neg_lo:[0,0,1] neg_hi:[0,0,1]
	s_nop 0
	v_addc_co_u32_e32 v9, vcc, 0, v5, vcc
	global_store_dwordx2 v[4:5], v[36:37], off offset:3536
	global_store_dwordx2 v[8:9], v[28:29], off offset:1208
	;; [unrolled: 1-line block ×3, first 2 shown]
	v_add_co_u32_e32 v26, vcc, 0x2000, v4
	s_nop 1
	v_addc_co_u32_e32 v27, vcc, 0, v5, vcc
	global_store_dwordx2 v[26:27], v[32:33], off offset:648
	global_store_dwordx2 v[26:27], v[34:35], off offset:2416
	v_add_co_u32_e32 v26, vcc, 0x3000, v4
	s_nop 1
	v_addc_co_u32_e32 v27, vcc, 0, v5, vcc
	global_store_dwordx2 v[26:27], v[24:25], off offset:88
	s_and_b64 exec, exec, s[0:1]
	s_cbranch_execz .LBB0_20
; %bb.24:
	v_mov_b32_e32 v1, 0xffffffab
	v_mov_b32_e32 v12, 0x88
	v_cndmask_b32_e64 v1, v1, v12, s[0:1]
	v_add_u32_e32 v1, v6, v1
	v_mul_i32_i24_e32 v6, 7, v1
	v_lshl_add_u64 v[6:7], v[6:7], 3, s[4:5]
	global_load_dwordx4 v[24:27], v[6:7], off offset:1632
	global_load_dwordx4 v[32:35], v[6:7], off offset:1648
	;; [unrolled: 1-line block ×3, first 2 shown]
	global_load_dwordx2 v[28:29], v[6:7], off offset:1680
	v_mov_b32_e32 v7, v20
	v_mov_b32_e32 v12, v13
	;; [unrolled: 1-line block ×4, first 2 shown]
	v_add_co_u32_e32 v42, vcc, 0x2000, v4
	s_waitcnt vmcnt(3)
	v_pk_mul_f32 v[20:21], v[20:21], v[24:25] op_sel:[1,0]
	v_pk_mul_f32 v[46:47], v[30:31], v[26:27] op_sel_hi:[0,1]
	s_waitcnt vmcnt(2)
	v_pk_mul_f32 v[30:31], v[30:31], v[32:33] op_sel:[1,0]
	v_pk_mul_f32 v[22:23], v[22:23], v[34:35] op_sel_hi:[0,1]
	s_waitcnt vmcnt(1)
	v_pk_mul_f32 v[48:49], v[16:17], v[36:37] op_sel_hi:[0,1]
	v_pk_mul_f32 v[16:17], v[16:17], v[38:39] op_sel:[1,0]
	s_waitcnt vmcnt(0)
	v_pk_mul_f32 v[14:15], v[14:15], v[28:29] op_sel_hi:[0,1]
	v_pk_fma_f32 v[50:51], v[18:19], v[24:25], v[20:21] op_sel:[1,0,1] op_sel_hi:[1,1,0]
	v_pk_fma_f32 v[18:19], v[18:19], v[24:25], v[20:21] op_sel:[1,0,1] op_sel_hi:[1,1,0] neg_lo:[1,0,0] neg_hi:[1,0,0]
	v_pk_fma_f32 v[20:21], v[2:3], v[26:27], v[46:47] op_sel:[0,0,1] op_sel_hi:[1,1,0]
	v_pk_fma_f32 v[24:25], v[2:3], v[26:27], v[46:47] op_sel:[0,0,1] op_sel_hi:[0,1,0] neg_lo:[1,0,0] neg_hi:[1,0,0]
	;; [unrolled: 2-line block ×7, first 2 shown]
	v_mov_b32_e32 v51, v19
	v_mov_b32_e32 v21, v25
	v_mov_b32_e32 v27, v3
	v_mov_b32_e32 v31, v1
	v_mov_b32_e32 v23, v33
	v_mov_b32_e32 v35, v11
	v_mov_b32_e32 v13, v15
	v_pk_add_f32 v[0:1], v[6:7], v[30:31] neg_lo:[0,1] neg_hi:[0,1]
	v_pk_add_f32 v[2:3], v[20:21], v[34:35] neg_lo:[0,1] neg_hi:[0,1]
	;; [unrolled: 1-line block ×4, first 2 shown]
	v_pk_fma_f32 v[6:7], v[6:7], 2.0, v[0:1] op_sel_hi:[1,0,1] neg_lo:[0,0,1] neg_hi:[0,0,1]
	v_pk_fma_f32 v[14:15], v[20:21], 2.0, v[2:3] op_sel_hi:[1,0,1] neg_lo:[0,0,1] neg_hi:[0,0,1]
	;; [unrolled: 1-line block ×4, first 2 shown]
	v_pk_add_f32 v[20:21], v[0:1], v[2:3] op_sel:[0,1] op_sel_hi:[1,0]
	v_pk_add_f32 v[2:3], v[0:1], v[2:3] op_sel:[0,1] op_sel_hi:[1,0] neg_lo:[0,1] neg_hi:[0,1]
	v_pk_add_f32 v[22:23], v[10:11], v[12:13] op_sel:[0,1] op_sel_hi:[1,0]
	v_pk_add_f32 v[12:13], v[10:11], v[12:13] op_sel:[0,1] op_sel_hi:[1,0] neg_lo:[0,1] neg_hi:[0,1]
	v_pk_add_f32 v[14:15], v[6:7], v[14:15] neg_lo:[0,1] neg_hi:[0,1]
	v_pk_add_f32 v[18:19], v[16:17], v[18:19] neg_lo:[0,1] neg_hi:[0,1]
	v_mov_b32_e32 v21, v3
	v_mov_b32_e32 v23, v13
	v_pk_fma_f32 v[2:3], v[6:7], 2.0, v[14:15] op_sel_hi:[1,0,1] neg_lo:[0,0,1] neg_hi:[0,0,1]
	v_pk_fma_f32 v[6:7], v[16:17], 2.0, v[18:19] op_sel_hi:[1,0,1] neg_lo:[0,0,1] neg_hi:[0,0,1]
	;; [unrolled: 1-line block ×4, first 2 shown]
	v_pk_add_f32 v[12:13], v[14:15], v[18:19] op_sel:[0,1] op_sel_hi:[1,0]
	v_pk_add_f32 v[16:17], v[14:15], v[18:19] op_sel:[0,1] op_sel_hi:[1,0] neg_lo:[0,1] neg_hi:[0,1]
	v_pk_mul_f32 v[18:19], v[22:23], s[2:3] op_sel_hi:[1,0]
	v_pk_fma_f32 v[22:23], v[22:23], s[2:3], v[20:21] op_sel_hi:[1,0,1]
	v_pk_mul_f32 v[24:25], v[10:11], s[2:3] op_sel_hi:[1,0]
	v_pk_fma_f32 v[10:11], v[10:11], s[2:3], v[0:1] op_sel_hi:[1,0,1] neg_lo:[1,0,0] neg_hi:[1,0,0]
	v_mov_b32_e32 v13, v17
	v_pk_add_f32 v[16:17], v[22:23], v[18:19] op_sel:[0,1] op_sel_hi:[1,0]
	v_pk_add_f32 v[18:19], v[22:23], v[18:19] op_sel:[0,1] op_sel_hi:[1,0] neg_lo:[0,1] neg_hi:[0,1]
	v_addc_co_u32_e32 v43, vcc, 0, v5, vcc
	v_pk_add_f32 v[6:7], v[2:3], v[6:7] neg_lo:[0,1] neg_hi:[0,1]
	v_pk_add_f32 v[22:23], v[10:11], v[24:25] op_sel:[0,1] op_sel_hi:[1,0]
	v_pk_add_f32 v[10:11], v[10:11], v[24:25] op_sel:[0,1] op_sel_hi:[1,0] neg_lo:[0,1] neg_hi:[0,1]
	v_mov_b32_e32 v17, v19
	v_add_co_u32_e32 v44, vcc, 0x3000, v4
	v_pk_fma_f32 v[2:3], v[2:3], 2.0, v[6:7] op_sel_hi:[1,0,1] neg_lo:[0,0,1] neg_hi:[0,0,1]
	global_store_dwordx2 v[8:9], v[6:7], off offset:4064
	global_store_dwordx2 v[42:43], v[12:13], off offset:3504
	v_mov_b32_e32 v23, v11
	v_pk_fma_f32 v[6:7], v[20:21], 2.0, v[16:17] op_sel_hi:[1,0,1] neg_lo:[0,0,1] neg_hi:[0,0,1]
	v_addc_co_u32_e32 v45, vcc, 0, v5, vcc
	v_pk_fma_f32 v[14:15], v[14:15], 2.0, v[12:13] op_sel_hi:[1,0,1] neg_lo:[0,0,1] neg_hi:[0,0,1]
	global_store_dwordx2 v[4:5], v[2:3], off offset:1088
	global_store_dwordx2 v[8:9], v[14:15], off offset:528
	v_pk_fma_f32 v[0:1], v[0:1], 2.0, v[22:23] op_sel_hi:[1,0,1] neg_lo:[0,0,1] neg_hi:[0,0,1]
	global_store_dwordx2 v[8:9], v[6:7], off offset:2296
	global_store_dwordx2 v[42:43], v[22:23], off offset:1736
	;; [unrolled: 1-line block ×4, first 2 shown]
	s_endpgm
	.section	.rodata,"a",@progbits
	.p2align	6, 0x0
	.amdhsa_kernel fft_rtc_back_len1768_factors_17_13_8_wgs_136_tpt_136_halfLds_sp_op_CI_CI_unitstride_sbrr_dirReg
		.amdhsa_group_segment_fixed_size 0
		.amdhsa_private_segment_fixed_size 0
		.amdhsa_kernarg_size 104
		.amdhsa_user_sgpr_count 2
		.amdhsa_user_sgpr_dispatch_ptr 0
		.amdhsa_user_sgpr_queue_ptr 0
		.amdhsa_user_sgpr_kernarg_segment_ptr 1
		.amdhsa_user_sgpr_dispatch_id 0
		.amdhsa_user_sgpr_kernarg_preload_length 0
		.amdhsa_user_sgpr_kernarg_preload_offset 0
		.amdhsa_user_sgpr_private_segment_size 0
		.amdhsa_uses_dynamic_stack 0
		.amdhsa_enable_private_segment 0
		.amdhsa_system_sgpr_workgroup_id_x 1
		.amdhsa_system_sgpr_workgroup_id_y 0
		.amdhsa_system_sgpr_workgroup_id_z 0
		.amdhsa_system_sgpr_workgroup_info 0
		.amdhsa_system_vgpr_workitem_id 0
		.amdhsa_next_free_vgpr 168
		.amdhsa_next_free_sgpr 66
		.amdhsa_accum_offset 168
		.amdhsa_reserve_vcc 1
		.amdhsa_float_round_mode_32 0
		.amdhsa_float_round_mode_16_64 0
		.amdhsa_float_denorm_mode_32 3
		.amdhsa_float_denorm_mode_16_64 3
		.amdhsa_dx10_clamp 1
		.amdhsa_ieee_mode 1
		.amdhsa_fp16_overflow 0
		.amdhsa_tg_split 0
		.amdhsa_exception_fp_ieee_invalid_op 0
		.amdhsa_exception_fp_denorm_src 0
		.amdhsa_exception_fp_ieee_div_zero 0
		.amdhsa_exception_fp_ieee_overflow 0
		.amdhsa_exception_fp_ieee_underflow 0
		.amdhsa_exception_fp_ieee_inexact 0
		.amdhsa_exception_int_div_zero 0
	.end_amdhsa_kernel
	.text
.Lfunc_end0:
	.size	fft_rtc_back_len1768_factors_17_13_8_wgs_136_tpt_136_halfLds_sp_op_CI_CI_unitstride_sbrr_dirReg, .Lfunc_end0-fft_rtc_back_len1768_factors_17_13_8_wgs_136_tpt_136_halfLds_sp_op_CI_CI_unitstride_sbrr_dirReg
                                        ; -- End function
	.section	.AMDGPU.csdata,"",@progbits
; Kernel info:
; codeLenInByte = 12552
; NumSgprs: 72
; NumVgprs: 168
; NumAgprs: 0
; TotalNumVgprs: 168
; ScratchSize: 0
; MemoryBound: 0
; FloatMode: 240
; IeeeMode: 1
; LDSByteSize: 0 bytes/workgroup (compile time only)
; SGPRBlocks: 8
; VGPRBlocks: 20
; NumSGPRsForWavesPerEU: 72
; NumVGPRsForWavesPerEU: 168
; AccumOffset: 168
; Occupancy: 3
; WaveLimiterHint : 1
; COMPUTE_PGM_RSRC2:SCRATCH_EN: 0
; COMPUTE_PGM_RSRC2:USER_SGPR: 2
; COMPUTE_PGM_RSRC2:TRAP_HANDLER: 0
; COMPUTE_PGM_RSRC2:TGID_X_EN: 1
; COMPUTE_PGM_RSRC2:TGID_Y_EN: 0
; COMPUTE_PGM_RSRC2:TGID_Z_EN: 0
; COMPUTE_PGM_RSRC2:TIDIG_COMP_CNT: 0
; COMPUTE_PGM_RSRC3_GFX90A:ACCUM_OFFSET: 41
; COMPUTE_PGM_RSRC3_GFX90A:TG_SPLIT: 0
	.text
	.p2alignl 6, 3212836864
	.fill 256, 4, 3212836864
	.type	__hip_cuid_5c3f982e59b1c026,@object ; @__hip_cuid_5c3f982e59b1c026
	.section	.bss,"aw",@nobits
	.globl	__hip_cuid_5c3f982e59b1c026
__hip_cuid_5c3f982e59b1c026:
	.byte	0                               ; 0x0
	.size	__hip_cuid_5c3f982e59b1c026, 1

	.ident	"AMD clang version 19.0.0git (https://github.com/RadeonOpenCompute/llvm-project roc-6.4.0 25133 c7fe45cf4b819c5991fe208aaa96edf142730f1d)"
	.section	".note.GNU-stack","",@progbits
	.addrsig
	.addrsig_sym __hip_cuid_5c3f982e59b1c026
	.amdgpu_metadata
---
amdhsa.kernels:
  - .agpr_count:     0
    .args:
      - .actual_access:  read_only
        .address_space:  global
        .offset:         0
        .size:           8
        .value_kind:     global_buffer
      - .offset:         8
        .size:           8
        .value_kind:     by_value
      - .actual_access:  read_only
        .address_space:  global
        .offset:         16
        .size:           8
        .value_kind:     global_buffer
      - .actual_access:  read_only
        .address_space:  global
        .offset:         24
        .size:           8
        .value_kind:     global_buffer
      - .actual_access:  read_only
        .address_space:  global
        .offset:         32
        .size:           8
        .value_kind:     global_buffer
      - .offset:         40
        .size:           8
        .value_kind:     by_value
      - .actual_access:  read_only
        .address_space:  global
        .offset:         48
        .size:           8
        .value_kind:     global_buffer
      - .actual_access:  read_only
        .address_space:  global
        .offset:         56
        .size:           8
        .value_kind:     global_buffer
      - .offset:         64
        .size:           4
        .value_kind:     by_value
      - .actual_access:  read_only
        .address_space:  global
        .offset:         72
        .size:           8
        .value_kind:     global_buffer
      - .actual_access:  read_only
        .address_space:  global
        .offset:         80
        .size:           8
        .value_kind:     global_buffer
      - .actual_access:  read_only
        .address_space:  global
        .offset:         88
        .size:           8
        .value_kind:     global_buffer
      - .actual_access:  write_only
        .address_space:  global
        .offset:         96
        .size:           8
        .value_kind:     global_buffer
    .group_segment_fixed_size: 0
    .kernarg_segment_align: 8
    .kernarg_segment_size: 104
    .language:       OpenCL C
    .language_version:
      - 2
      - 0
    .max_flat_workgroup_size: 136
    .name:           fft_rtc_back_len1768_factors_17_13_8_wgs_136_tpt_136_halfLds_sp_op_CI_CI_unitstride_sbrr_dirReg
    .private_segment_fixed_size: 0
    .sgpr_count:     72
    .sgpr_spill_count: 0
    .symbol:         fft_rtc_back_len1768_factors_17_13_8_wgs_136_tpt_136_halfLds_sp_op_CI_CI_unitstride_sbrr_dirReg.kd
    .uniform_work_group_size: 1
    .uses_dynamic_stack: false
    .vgpr_count:     168
    .vgpr_spill_count: 0
    .wavefront_size: 64
amdhsa.target:   amdgcn-amd-amdhsa--gfx950
amdhsa.version:
  - 1
  - 2
...

	.end_amdgpu_metadata
